;; amdgpu-corpus repo=ROCm/rocFFT kind=compiled arch=gfx1030 opt=O3
	.text
	.amdgcn_target "amdgcn-amd-amdhsa--gfx1030"
	.amdhsa_code_object_version 6
	.protected	fft_rtc_back_len663_factors_17_13_3_wgs_51_tpt_51_dp_ip_CI_unitstride_sbrr_dirReg ; -- Begin function fft_rtc_back_len663_factors_17_13_3_wgs_51_tpt_51_dp_ip_CI_unitstride_sbrr_dirReg
	.globl	fft_rtc_back_len663_factors_17_13_3_wgs_51_tpt_51_dp_ip_CI_unitstride_sbrr_dirReg
	.p2align	8
	.type	fft_rtc_back_len663_factors_17_13_3_wgs_51_tpt_51_dp_ip_CI_unitstride_sbrr_dirReg,@function
fft_rtc_back_len663_factors_17_13_3_wgs_51_tpt_51_dp_ip_CI_unitstride_sbrr_dirReg: ; @fft_rtc_back_len663_factors_17_13_3_wgs_51_tpt_51_dp_ip_CI_unitstride_sbrr_dirReg
; %bb.0:
	s_mov_b64 s[58:59], s[2:3]
	s_mov_b64 s[56:57], s[0:1]
	s_clause 0x2
	s_load_dwordx4 s[8:11], s[4:5], 0x0
	s_load_dwordx2 s[2:3], s[4:5], 0x50
	s_load_dwordx2 s[12:13], s[4:5], 0x18
	v_mul_u32_u24_e32 v1, 0x506, v0
	v_mov_b32_e32 v3, 0
	s_add_u32 s56, s56, s7
	s_addc_u32 s57, s57, 0
	v_add_nc_u32_sdwa v5, s6, v1 dst_sel:DWORD dst_unused:UNUSED_PAD src0_sel:DWORD src1_sel:WORD_1
	v_mov_b32_e32 v1, 0
	v_mov_b32_e32 v6, v3
	;; [unrolled: 1-line block ×3, first 2 shown]
	s_waitcnt lgkmcnt(0)
	v_cmp_lt_u64_e64 s0, s[10:11], 2
	s_and_b32 vcc_lo, exec_lo, s0
	s_cbranch_vccnz .LBB0_8
; %bb.1:
	s_load_dwordx2 s[0:1], s[4:5], 0x10
	v_mov_b32_e32 v1, 0
	s_add_u32 s6, s12, 8
	v_mov_b32_e32 v2, 0
	s_addc_u32 s7, s13, 0
	s_mov_b64 s[16:17], 1
	s_waitcnt lgkmcnt(0)
	s_add_u32 s14, s0, 8
	s_addc_u32 s15, s1, 0
.LBB0_2:                                ; =>This Inner Loop Header: Depth=1
	s_load_dwordx2 s[18:19], s[14:15], 0x0
                                        ; implicit-def: $vgpr7_vgpr8
	s_mov_b32 s0, exec_lo
	s_waitcnt lgkmcnt(0)
	v_or_b32_e32 v4, s19, v6
	v_cmpx_ne_u64_e32 0, v[3:4]
	s_xor_b32 s1, exec_lo, s0
	s_cbranch_execz .LBB0_4
; %bb.3:                                ;   in Loop: Header=BB0_2 Depth=1
	v_cvt_f32_u32_e32 v4, s18
	v_cvt_f32_u32_e32 v7, s19
	s_sub_u32 s0, 0, s18
	s_subb_u32 s20, 0, s19
	v_fmac_f32_e32 v4, 0x4f800000, v7
	v_rcp_f32_e32 v4, v4
	v_mul_f32_e32 v4, 0x5f7ffffc, v4
	v_mul_f32_e32 v7, 0x2f800000, v4
	v_trunc_f32_e32 v7, v7
	v_fmac_f32_e32 v4, 0xcf800000, v7
	v_cvt_u32_f32_e32 v7, v7
	v_cvt_u32_f32_e32 v4, v4
	v_mul_lo_u32 v8, s0, v7
	v_mul_hi_u32 v9, s0, v4
	v_mul_lo_u32 v10, s20, v4
	v_add_nc_u32_e32 v8, v9, v8
	v_mul_lo_u32 v9, s0, v4
	v_add_nc_u32_e32 v8, v8, v10
	v_mul_hi_u32 v10, v4, v9
	v_mul_lo_u32 v11, v4, v8
	v_mul_hi_u32 v12, v4, v8
	v_mul_hi_u32 v13, v7, v9
	v_mul_lo_u32 v9, v7, v9
	v_mul_hi_u32 v14, v7, v8
	v_mul_lo_u32 v8, v7, v8
	v_add_co_u32 v10, vcc_lo, v10, v11
	v_add_co_ci_u32_e32 v11, vcc_lo, 0, v12, vcc_lo
	v_add_co_u32 v9, vcc_lo, v10, v9
	v_add_co_ci_u32_e32 v9, vcc_lo, v11, v13, vcc_lo
	v_add_co_ci_u32_e32 v10, vcc_lo, 0, v14, vcc_lo
	v_add_co_u32 v8, vcc_lo, v9, v8
	v_add_co_ci_u32_e32 v9, vcc_lo, 0, v10, vcc_lo
	v_add_co_u32 v4, vcc_lo, v4, v8
	v_add_co_ci_u32_e32 v7, vcc_lo, v7, v9, vcc_lo
	v_mul_hi_u32 v8, s0, v4
	v_mul_lo_u32 v10, s20, v4
	v_mul_lo_u32 v9, s0, v7
	v_add_nc_u32_e32 v8, v8, v9
	v_mul_lo_u32 v9, s0, v4
	v_add_nc_u32_e32 v8, v8, v10
	v_mul_hi_u32 v10, v4, v9
	v_mul_lo_u32 v11, v4, v8
	v_mul_hi_u32 v12, v4, v8
	v_mul_hi_u32 v13, v7, v9
	v_mul_lo_u32 v9, v7, v9
	v_mul_hi_u32 v14, v7, v8
	v_mul_lo_u32 v8, v7, v8
	v_add_co_u32 v10, vcc_lo, v10, v11
	v_add_co_ci_u32_e32 v11, vcc_lo, 0, v12, vcc_lo
	v_add_co_u32 v9, vcc_lo, v10, v9
	v_add_co_ci_u32_e32 v9, vcc_lo, v11, v13, vcc_lo
	v_add_co_ci_u32_e32 v10, vcc_lo, 0, v14, vcc_lo
	v_add_co_u32 v8, vcc_lo, v9, v8
	v_add_co_ci_u32_e32 v9, vcc_lo, 0, v10, vcc_lo
	v_add_co_u32 v4, vcc_lo, v4, v8
	v_add_co_ci_u32_e32 v11, vcc_lo, v7, v9, vcc_lo
	v_mul_hi_u32 v13, v5, v4
	v_mad_u64_u32 v[9:10], null, v6, v4, 0
	v_mad_u64_u32 v[7:8], null, v5, v11, 0
	;; [unrolled: 1-line block ×3, first 2 shown]
	v_add_co_u32 v4, vcc_lo, v13, v7
	v_add_co_ci_u32_e32 v7, vcc_lo, 0, v8, vcc_lo
	v_add_co_u32 v4, vcc_lo, v4, v9
	v_add_co_ci_u32_e32 v4, vcc_lo, v7, v10, vcc_lo
	v_add_co_ci_u32_e32 v7, vcc_lo, 0, v12, vcc_lo
	v_add_co_u32 v4, vcc_lo, v4, v11
	v_add_co_ci_u32_e32 v9, vcc_lo, 0, v7, vcc_lo
	v_mul_lo_u32 v10, s19, v4
	v_mad_u64_u32 v[7:8], null, s18, v4, 0
	v_mul_lo_u32 v11, s18, v9
	v_sub_co_u32 v7, vcc_lo, v5, v7
	v_add3_u32 v8, v8, v11, v10
	v_sub_nc_u32_e32 v10, v6, v8
	v_subrev_co_ci_u32_e64 v10, s0, s19, v10, vcc_lo
	v_add_co_u32 v11, s0, v4, 2
	v_add_co_ci_u32_e64 v12, s0, 0, v9, s0
	v_sub_co_u32 v13, s0, v7, s18
	v_sub_co_ci_u32_e32 v8, vcc_lo, v6, v8, vcc_lo
	v_subrev_co_ci_u32_e64 v10, s0, 0, v10, s0
	v_cmp_le_u32_e32 vcc_lo, s18, v13
	v_cmp_eq_u32_e64 s0, s19, v8
	v_cndmask_b32_e64 v13, 0, -1, vcc_lo
	v_cmp_le_u32_e32 vcc_lo, s19, v10
	v_cndmask_b32_e64 v14, 0, -1, vcc_lo
	v_cmp_le_u32_e32 vcc_lo, s18, v7
	;; [unrolled: 2-line block ×3, first 2 shown]
	v_cndmask_b32_e64 v15, 0, -1, vcc_lo
	v_cmp_eq_u32_e32 vcc_lo, s19, v10
	v_cndmask_b32_e64 v7, v15, v7, s0
	v_cndmask_b32_e32 v10, v14, v13, vcc_lo
	v_add_co_u32 v13, vcc_lo, v4, 1
	v_add_co_ci_u32_e32 v14, vcc_lo, 0, v9, vcc_lo
	v_cmp_ne_u32_e32 vcc_lo, 0, v10
	v_cndmask_b32_e32 v8, v14, v12, vcc_lo
	v_cndmask_b32_e32 v10, v13, v11, vcc_lo
	v_cmp_ne_u32_e32 vcc_lo, 0, v7
	v_cndmask_b32_e32 v8, v9, v8, vcc_lo
	v_cndmask_b32_e32 v7, v4, v10, vcc_lo
.LBB0_4:                                ;   in Loop: Header=BB0_2 Depth=1
	s_andn2_saveexec_b32 s0, s1
	s_cbranch_execz .LBB0_6
; %bb.5:                                ;   in Loop: Header=BB0_2 Depth=1
	v_cvt_f32_u32_e32 v4, s18
	s_sub_i32 s1, 0, s18
	v_rcp_iflag_f32_e32 v4, v4
	v_mul_f32_e32 v4, 0x4f7ffffe, v4
	v_cvt_u32_f32_e32 v4, v4
	v_mul_lo_u32 v7, s1, v4
	v_mul_hi_u32 v7, v4, v7
	v_add_nc_u32_e32 v4, v4, v7
	v_mul_hi_u32 v4, v5, v4
	v_mul_lo_u32 v7, v4, s18
	v_add_nc_u32_e32 v8, 1, v4
	v_sub_nc_u32_e32 v7, v5, v7
	v_subrev_nc_u32_e32 v9, s18, v7
	v_cmp_le_u32_e32 vcc_lo, s18, v7
	v_cndmask_b32_e32 v7, v7, v9, vcc_lo
	v_cndmask_b32_e32 v4, v4, v8, vcc_lo
	v_cmp_le_u32_e32 vcc_lo, s18, v7
	v_add_nc_u32_e32 v8, 1, v4
	v_cndmask_b32_e32 v7, v4, v8, vcc_lo
	v_mov_b32_e32 v8, v3
.LBB0_6:                                ;   in Loop: Header=BB0_2 Depth=1
	s_or_b32 exec_lo, exec_lo, s0
	s_load_dwordx2 s[0:1], s[6:7], 0x0
	v_mul_lo_u32 v4, v8, s18
	v_mul_lo_u32 v11, v7, s19
	v_mad_u64_u32 v[9:10], null, v7, s18, 0
	s_add_u32 s16, s16, 1
	s_addc_u32 s17, s17, 0
	s_add_u32 s6, s6, 8
	s_addc_u32 s7, s7, 0
	;; [unrolled: 2-line block ×3, first 2 shown]
	v_add3_u32 v4, v10, v11, v4
	v_sub_co_u32 v5, vcc_lo, v5, v9
	v_sub_co_ci_u32_e32 v4, vcc_lo, v6, v4, vcc_lo
	s_waitcnt lgkmcnt(0)
	v_mul_lo_u32 v6, s1, v5
	v_mul_lo_u32 v4, s0, v4
	v_mad_u64_u32 v[1:2], null, s0, v5, v[1:2]
	v_cmp_ge_u64_e64 s0, s[16:17], s[10:11]
	s_and_b32 vcc_lo, exec_lo, s0
	v_add3_u32 v2, v6, v2, v4
	s_cbranch_vccnz .LBB0_9
; %bb.7:                                ;   in Loop: Header=BB0_2 Depth=1
	v_mov_b32_e32 v5, v7
	v_mov_b32_e32 v6, v8
	s_branch .LBB0_2
.LBB0_8:
	v_mov_b32_e32 v8, v6
	v_mov_b32_e32 v7, v5
.LBB0_9:
	s_lshl_b64 s[0:1], s[10:11], 3
	v_mul_hi_u32 v3, 0x5050506, v0
	s_add_u32 s0, s12, s0
	s_addc_u32 s1, s13, s1
                                        ; implicit-def: $vgpr14_vgpr15
                                        ; implicit-def: $vgpr18_vgpr19
                                        ; implicit-def: $vgpr22_vgpr23
                                        ; implicit-def: $vgpr26_vgpr27
                                        ; implicit-def: $vgpr30_vgpr31
                                        ; implicit-def: $vgpr42_vgpr43
                                        ; implicit-def: $vgpr50_vgpr51
                                        ; implicit-def: $vgpr34_vgpr35
                                        ; implicit-def: $vgpr38_vgpr39
                                        ; implicit-def: $vgpr46_vgpr47
                                        ; implicit-def: $vgpr54_vgpr55
                                        ; implicit-def: $vgpr58_vgpr59
                                        ; implicit-def: $vgpr66_vgpr67
                                        ; implicit-def: $vgpr70_vgpr71
                                        ; implicit-def: $vgpr74_vgpr75
                                        ; implicit-def: $vgpr62_vgpr63
                                        ; implicit-def: $vgpr10_vgpr11
	s_load_dwordx2 s[0:1], s[0:1], 0x0
	s_load_dwordx2 s[4:5], s[4:5], 0x20
	v_mul_u32_u24_e32 v3, 51, v3
	v_sub_nc_u32_e32 v76, v0, v3
	s_waitcnt lgkmcnt(0)
	v_mul_lo_u32 v4, s0, v8
	v_mul_lo_u32 v5, s1, v7
	v_mad_u64_u32 v[1:2], null, s0, v7, v[1:2]
	v_cmp_gt_u64_e32 vcc_lo, s[4:5], v[7:8]
	v_cmp_gt_u32_e64 s0, 39, v76
	s_and_b32 s1, vcc_lo, s0
	v_add3_u32 v2, v5, v2, v4
	v_lshlrev_b64 v[224:225], 4, v[1:2]
	s_and_saveexec_b32 s4, s1
	s_cbranch_execz .LBB0_11
; %bb.10:
	v_mov_b32_e32 v77, 0
	v_add_co_u32 v2, s1, s2, v224
	v_add_co_ci_u32_e64 v3, s1, s3, v225, s1
	v_lshlrev_b64 v[0:1], 4, v[76:77]
	v_add_co_u32 v0, s1, v2, v0
	v_add_co_ci_u32_e64 v1, s1, v3, v1, s1
	s_clause 0x1
	global_load_dwordx4 v[8:11], v[0:1], off
	global_load_dwordx4 v[60:63], v[0:1], off offset:624
	v_add_co_u32 v2, s1, 0x800, v0
	v_add_co_ci_u32_e64 v3, s1, 0, v1, s1
	v_add_co_u32 v4, s1, 0x1000, v0
	v_add_co_ci_u32_e64 v5, s1, 0, v1, s1
	s_clause 0x7
	global_load_dwordx4 v[72:75], v[0:1], off offset:1248
	global_load_dwordx4 v[68:71], v[0:1], off offset:1872
	global_load_dwordx4 v[64:67], v[2:3], off offset:448
	global_load_dwordx4 v[56:59], v[2:3], off offset:1072
	global_load_dwordx4 v[52:55], v[2:3], off offset:1696
	global_load_dwordx4 v[44:47], v[4:5], off offset:272
	global_load_dwordx4 v[36:39], v[4:5], off offset:896
	global_load_dwordx4 v[32:35], v[4:5], off offset:1520
	v_add_co_u32 v2, s1, 0x1800, v0
	v_add_co_ci_u32_e64 v3, s1, 0, v1, s1
	v_add_co_u32 v0, s1, 0x2000, v0
	v_add_co_ci_u32_e64 v1, s1, 0, v1, s1
	s_clause 0x6
	global_load_dwordx4 v[48:51], v[2:3], off offset:96
	global_load_dwordx4 v[40:43], v[2:3], off offset:720
	;; [unrolled: 1-line block ×7, first 2 shown]
.LBB0_11:
	s_or_b32 exec_lo, exec_lo, s4
	s_waitcnt vmcnt(0)
	v_add_f64 v[80:81], v[62:63], -v[14:15]
	v_add_f64 v[90:91], v[60:61], -v[12:13]
	s_mov_b32 s4, 0x7c9e640b
	s_mov_b32 s16, 0xeb564b22
	;; [unrolled: 1-line block ×4, first 2 shown]
	v_add_f64 v[88:89], v[12:13], v[60:61]
	v_add_f64 v[82:83], v[74:75], -v[18:19]
	v_add_f64 v[84:85], v[14:15], v[62:63]
	v_add_f64 v[86:87], v[72:73], -v[16:17]
	s_mov_b32 s12, 0x2b2883cd
	s_mov_b32 s20, 0x6c9a05f6
	;; [unrolled: 1-line block ×8, first 2 shown]
	v_add_f64 v[130:131], v[16:17], v[72:73]
	v_add_f64 v[104:105], v[18:19], v[74:75]
	v_add_f64 v[92:93], v[70:71], -v[22:23]
	v_add_f64 v[118:119], v[68:69], -v[20:21]
	v_mul_f64 v[148:149], v[80:81], s[4:5]
	v_mul_f64 v[150:151], v[90:91], s[4:5]
	;; [unrolled: 1-line block ×4, first 2 shown]
	s_mov_b32 s18, 0x6ed5f1bb
	s_mov_b32 s14, 0x7faef3
	s_mov_b32 s26, 0x923c349f
	v_mul_f64 v[152:153], v[82:83], s[20:21]
	v_mul_f64 v[176:177], v[82:83], s[6:7]
	;; [unrolled: 1-line block ×4, first 2 shown]
	s_mov_b32 s19, 0xbfe348c8
	s_mov_b32 s11, 0x3fc7851a
	s_mov_b32 s15, 0xbfef7484
	s_mov_b32 s10, s6
	s_mov_b32 s27, 0x3feec746
	v_add_f64 v[136:137], v[20:21], v[68:69]
	v_add_f64 v[106:107], v[22:23], v[70:71]
	v_add_f64 v[94:95], v[66:67], -v[26:27]
	v_add_f64 v[120:121], v[64:65], -v[24:25]
	v_mul_f64 v[158:159], v[92:93], s[10:11]
	v_mul_f64 v[164:165], v[118:119], s[10:11]
	v_fma_f64 v[0:1], v[88:89], s[12:13], -v[148:149]
	v_fma_f64 v[2:3], v[84:85], s[12:13], v[150:151]
	v_fma_f64 v[4:5], v[88:89], s[28:29], -v[174:175]
	v_fma_f64 v[6:7], v[84:85], s[28:29], v[200:201]
	v_mul_f64 v[186:187], v[92:93], s[26:27]
	v_mul_f64 v[194:195], v[118:119], s[26:27]
	s_mov_b32 s34, 0xc61f0d01
	v_fma_f64 v[98:99], v[130:131], s[18:19], -v[152:153]
	v_fma_f64 v[102:103], v[130:131], s[14:15], -v[176:177]
	v_fma_f64 v[100:101], v[104:105], s[18:19], v[162:163]
	v_fma_f64 v[110:111], v[104:105], s[14:15], v[202:203]
	s_mov_b32 s22, 0x5d8e7cdc
	s_mov_b32 s35, 0xbfd183b1
	;; [unrolled: 1-line block ×3, first 2 shown]
	v_add_f64 v[138:139], v[24:25], v[64:65]
	v_add_f64 v[108:109], v[26:27], v[66:67]
	v_add_f64 v[96:97], v[58:59], -v[30:31]
	v_add_f64 v[122:123], v[56:57], -v[28:29]
	v_mul_f64 v[154:155], v[94:95], s[26:27]
	v_mul_f64 v[166:167], v[120:121], s[26:27]
	;; [unrolled: 1-line block ×4, first 2 shown]
	v_add_f64 v[0:1], v[8:9], v[0:1]
	v_add_f64 v[2:3], v[10:11], v[2:3]
	;; [unrolled: 1-line block ×4, first 2 shown]
	v_fma_f64 v[112:113], v[136:137], s[14:15], -v[158:159]
	v_fma_f64 v[114:115], v[106:107], s[14:15], v[164:165]
	v_fma_f64 v[116:117], v[136:137], s[34:35], -v[186:187]
	v_fma_f64 v[126:127], v[106:107], s[34:35], v[194:195]
	s_mov_b32 s42, 0x2a9d6da3
	s_mov_b32 s24, 0x370991
	s_mov_b32 s43, 0x3fe58eea
	s_mov_b32 s25, 0x3fedd6d0
	v_add_f64 v[140:141], v[28:29], v[56:57]
	v_add_f64 v[124:125], v[52:53], -v[40:41]
	s_mov_b32 s44, 0x75d4884
	s_mov_b32 s38, 0x4363dd80
	v_mul_f64 v[156:157], v[96:97], s[42:43]
	v_mul_f64 v[170:171], v[122:123], s[42:43]
	;; [unrolled: 1-line block ×4, first 2 shown]
	v_fma_f64 v[128:129], v[108:109], s[34:35], v[166:167]
	v_fma_f64 v[132:133], v[138:139], s[24:25], -v[180:181]
	v_add_f64 v[0:1], v[98:99], v[0:1]
	v_add_f64 v[2:3], v[100:101], v[2:3]
	;; [unrolled: 1-line block ×5, first 2 shown]
	v_add_f64 v[98:99], v[54:55], -v[42:43]
	v_fma_f64 v[102:103], v[138:139], s[34:35], -v[154:155]
	v_fma_f64 v[134:135], v[108:109], s[24:25], v[196:197]
	s_mov_b32 s45, 0x3fe7a5f6
	s_mov_b32 s31, 0xbfd71e95
	;; [unrolled: 1-line block ×4, first 2 shown]
	v_add_f64 v[142:143], v[40:41], v[52:53]
	v_add_f64 v[100:101], v[46:47], -v[50:51]
	v_mul_f64 v[172:173], v[124:125], s[30:31]
	v_mul_f64 v[206:207], v[124:125], s[38:39]
	s_mov_b32 s40, 0x910ea3b9
	s_mov_b32 s41, 0xbfeb34fa
	v_fma_f64 v[190:191], v[140:141], s[12:13], -v[182:183]
	s_mov_b32 s37, 0x3fe9895b
	s_mov_b32 s36, s20
	v_add_f64 v[144:145], v[48:49], v[44:45]
	v_add_f64 v[0:1], v[112:113], v[0:1]
	;; [unrolled: 1-line block ×6, first 2 shown]
	v_add_f64 v[126:127], v[44:45], -v[48:49]
	v_mul_f64 v[160:161], v[98:99], s[30:31]
	v_mul_f64 v[184:185], v[98:99], s[38:39]
	v_fma_f64 v[116:117], v[140:141], s[44:45], -v[156:157]
	v_fma_f64 v[146:147], v[110:111], s[44:45], v[170:171]
	v_fma_f64 v[192:193], v[110:111], s[12:13], v[198:199]
	v_add_f64 v[114:115], v[50:51], v[46:47]
	v_mul_f64 v[168:169], v[100:101], s[16:17]
	v_mul_f64 v[188:189], v[100:101], s[36:37]
	v_add_f64 v[0:1], v[102:103], v[0:1]
	v_add_f64 v[2:3], v[128:129], v[2:3]
	;; [unrolled: 1-line block ×4, first 2 shown]
	v_add_f64 v[102:103], v[38:39], -v[34:35]
	v_add_f64 v[128:129], v[36:37], -v[32:33]
	v_mul_f64 v[178:179], v[126:127], s[16:17]
	v_mul_f64 v[204:205], v[126:127], s[36:37]
	v_fma_f64 v[208:209], v[142:143], s[24:25], -v[160:161]
	v_fma_f64 v[210:211], v[112:113], s[24:25], v[172:173]
	v_fma_f64 v[212:213], v[142:143], s[40:41], -v[184:185]
	v_fma_f64 v[214:215], v[112:113], s[40:41], v[206:207]
	v_fma_f64 v[216:217], v[144:145], s[28:29], -v[168:169]
	v_fma_f64 v[220:221], v[144:145], s[18:19], -v[188:189]
	v_add_f64 v[0:1], v[116:117], v[0:1]
	v_add_f64 v[2:3], v[146:147], v[2:3]
	;; [unrolled: 1-line block ×6, first 2 shown]
	v_mul_f64 v[77:78], v[102:103], s[38:39]
	v_mul_f64 v[134:135], v[128:129], s[38:39]
	;; [unrolled: 1-line block ×4, first 2 shown]
	v_fma_f64 v[218:219], v[114:115], s[28:29], v[178:179]
	v_fma_f64 v[222:223], v[114:115], s[18:19], v[204:205]
	v_add_f64 v[0:1], v[208:209], v[0:1]
	v_add_f64 v[2:3], v[210:211], v[2:3]
	;; [unrolled: 1-line block ×4, first 2 shown]
	v_fma_f64 v[208:209], v[146:147], s[40:41], -v[77:78]
	v_fma_f64 v[210:211], v[116:117], s[40:41], v[134:135]
	v_fma_f64 v[212:213], v[146:147], s[44:45], -v[190:191]
	v_fma_f64 v[214:215], v[116:117], s[44:45], v[192:193]
	v_add_f64 v[0:1], v[216:217], v[0:1]
	v_add_f64 v[2:3], v[218:219], v[2:3]
	;; [unrolled: 1-line block ×8, first 2 shown]
	s_and_saveexec_b32 s33, s0
	s_cbranch_execz .LBB0_13
; %bb.12:
	v_mul_f64 v[208:209], v[90:91], s[6:7]
	v_mul_f64 v[210:211], v[88:89], s[14:15]
	;; [unrolled: 1-line block ×4, first 2 shown]
	buffer_store_dword v224, off, s[56:59], 0 ; 4-byte Folded Spill
	buffer_store_dword v225, off, s[56:59], 0 offset:4 ; 4-byte Folded Spill
	v_mul_f64 v[220:221], v[118:119], s[38:39]
	v_mul_f64 v[222:223], v[136:137], s[40:41]
	s_mov_b32 s1, 0x3fe0d888
	s_mov_b32 s0, s38
	v_mul_f64 v[228:229], v[120:121], s[42:43]
	v_mul_f64 v[234:235], v[138:139], s[44:45]
	s_mov_b32 s49, 0xbfe58eea
	s_mov_b32 s48, s42
	;; [unrolled: 1-line block ×4, first 2 shown]
	v_add_f64 v[62:63], v[62:63], v[10:11]
	v_add_f64 v[60:61], v[60:61], v[8:9]
	s_mov_b32 s51, 0xbfeec746
	s_mov_b32 s50, s26
	;; [unrolled: 1-line block ×4, first 2 shown]
	v_mul_f64 v[248:249], v[120:121], s[36:37]
	v_fma_f64 v[214:215], v[84:85], s[14:15], v[208:209]
	v_fma_f64 v[218:219], v[80:81], s[10:11], v[210:211]
	v_fma_f64 v[208:209], v[84:85], s[14:15], -v[208:209]
	v_fma_f64 v[210:211], v[80:81], s[6:7], v[210:211]
	v_fma_f64 v[224:225], v[104:105], s[24:25], v[212:213]
	v_fma_f64 v[226:227], v[82:83], s[30:31], v[216:217]
	v_fma_f64 v[212:213], v[104:105], s[24:25], -v[212:213]
	v_fma_f64 v[216:217], v[82:83], s[22:23], v[216:217]
	;; [unrolled: 4-line block ×3, first 2 shown]
	v_fma_f64 v[240:241], v[108:109], s[44:45], v[228:229]
	v_fma_f64 v[244:245], v[94:95], s[48:49], v[234:235]
	v_mul_f64 v[250:251], v[88:89], s[18:19]
	v_add_f64 v[62:63], v[74:75], v[62:63]
	v_add_f64 v[60:61], v[72:73], v[60:61]
	v_mul_f64 v[74:75], v[130:131], s[12:13]
	v_mul_f64 v[72:73], v[146:147], s[28:29]
	buffer_store_dword v77, off, s[56:59], 0 offset:8 ; 4-byte Folded Spill
	buffer_store_dword v78, off, s[56:59], 0 offset:12 ; 4-byte Folded Spill
	v_mul_f64 v[132:133], v[130:131], s[34:35]
	v_add_f64 v[214:215], v[10:11], v[214:215]
	v_add_f64 v[218:219], v[8:9], v[218:219]
	;; [unrolled: 1-line block ×4, first 2 shown]
	v_mul_f64 v[210:211], v[122:123], s[20:21]
	v_mul_f64 v[208:209], v[140:141], s[18:19]
	v_add_f64 v[62:63], v[70:71], v[62:63]
	v_add_f64 v[60:61], v[68:69], v[60:61]
	v_mul_f64 v[70:71], v[136:137], s[28:29]
	v_fma_f64 v[252:253], v[82:83], s[4:5], v[74:75]
	v_mul_f64 v[68:69], v[138:139], s[18:19]
	v_add_f64 v[224:225], v[224:225], v[214:215]
	v_add_f64 v[218:219], v[226:227], v[218:219]
	;; [unrolled: 1-line block ×3, first 2 shown]
	v_mul_f64 v[214:215], v[90:91], s[38:39]
	v_add_f64 v[230:231], v[216:217], v[232:233]
	v_mul_f64 v[216:217], v[142:143], s[12:13]
	v_fma_f64 v[226:227], v[94:95], s[42:43], v[234:235]
	v_add_f64 v[254:255], v[66:67], v[62:63]
	v_add_f64 v[77:78], v[64:65], v[60:61]
	v_fma_f64 v[64:65], v[82:83], s[46:47], v[74:75]
	v_fma_f64 v[66:67], v[80:81], s[36:37], v[250:251]
	v_add_f64 v[242:243], v[236:237], v[224:225]
	v_add_f64 v[238:239], v[238:239], v[218:219]
	v_fma_f64 v[224:225], v[108:109], s[44:45], -v[228:229]
	v_add_f64 v[232:233], v[220:221], v[212:213]
	v_mul_f64 v[212:213], v[86:87], s[46:47]
	v_fma_f64 v[236:237], v[84:85], s[40:41], v[214:215]
	v_mul_f64 v[218:219], v[124:125], s[46:47]
	v_add_f64 v[234:235], v[222:223], v[230:231]
	v_fma_f64 v[220:221], v[110:111], s[18:19], v[210:211]
	v_fma_f64 v[222:223], v[96:97], s[36:37], v[208:209]
	v_fma_f64 v[210:211], v[110:111], s[18:19], -v[210:211]
	v_fma_f64 v[208:209], v[96:97], s[20:21], v[208:209]
	v_fma_f64 v[214:215], v[84:85], s[40:41], -v[214:215]
	v_add_f64 v[58:59], v[58:59], v[254:255]
	v_add_f64 v[56:57], v[56:57], v[77:78]
	v_mul_f64 v[254:255], v[128:129], s[20:21]
	v_add_f64 v[228:229], v[240:241], v[242:243]
	v_add_f64 v[230:231], v[244:245], v[238:239]
	v_mul_f64 v[238:239], v[88:89], s[40:41]
	v_mul_f64 v[240:241], v[144:145], s[34:35]
	;; [unrolled: 1-line block ×3, first 2 shown]
	v_add_f64 v[224:225], v[224:225], v[232:233]
	v_fma_f64 v[232:233], v[104:105], s[12:13], v[212:213]
	v_add_f64 v[236:237], v[10:11], v[236:237]
	v_mul_f64 v[244:245], v[126:127], s[50:51]
	v_add_f64 v[226:227], v[226:227], v[234:235]
	v_fma_f64 v[234:235], v[112:113], s[12:13], v[218:219]
	v_fma_f64 v[218:219], v[112:113], s[12:13], -v[218:219]
	v_fma_f64 v[212:213], v[104:105], s[12:13], -v[212:213]
	v_add_f64 v[214:215], v[10:11], v[214:215]
	v_add_f64 v[54:55], v[54:55], v[58:59]
	;; [unrolled: 1-line block ×3, first 2 shown]
	v_mul_f64 v[56:57], v[144:145], s[14:15]
	v_mul_f64 v[52:53], v[120:121], s[4:5]
	v_add_f64 v[220:221], v[220:221], v[228:229]
	v_fma_f64 v[228:229], v[98:99], s[4:5], v[216:217]
	v_add_f64 v[222:223], v[222:223], v[230:231]
	v_fma_f64 v[246:247], v[80:81], s[0:1], v[238:239]
	v_fma_f64 v[216:217], v[98:99], s[46:47], v[216:217]
	v_add_f64 v[210:211], v[210:211], v[224:225]
	v_fma_f64 v[224:225], v[106:107], s[28:29], v[242:243]
	v_add_f64 v[232:233], v[232:233], v[236:237]
	v_mul_f64 v[236:237], v[90:91], s[20:21]
	v_add_f64 v[208:209], v[208:209], v[226:227]
	v_fma_f64 v[226:227], v[114:115], s[34:35], v[244:245]
	v_fma_f64 v[238:239], v[80:81], s[38:39], v[238:239]
	v_mul_f64 v[230:231], v[122:123], s[30:31]
	v_fma_f64 v[244:245], v[114:115], s[34:35], -v[244:245]
	v_add_f64 v[212:213], v[212:213], v[214:215]
	v_fma_f64 v[242:243], v[106:107], s[28:29], -v[242:243]
	v_mul_f64 v[214:215], v[124:125], s[6:7]
	v_add_f64 v[46:47], v[46:47], v[54:55]
	v_add_f64 v[44:45], v[44:45], v[58:59]
	v_mul_f64 v[54:55], v[88:89], s[24:25]
	v_mul_f64 v[58:59], v[88:89], s[44:45]
	v_add_f64 v[220:221], v[234:235], v[220:221]
	v_fma_f64 v[234:235], v[100:101], s[26:27], v[240:241]
	v_add_f64 v[222:223], v[228:229], v[222:223]
	v_mul_f64 v[228:229], v[128:129], s[52:53]
	v_add_f64 v[246:247], v[8:9], v[246:247]
	v_add_f64 v[210:211], v[218:219], v[210:211]
	v_mul_f64 v[218:219], v[86:87], s[26:27]
	v_add_f64 v[224:225], v[224:225], v[232:233]
	v_fma_f64 v[232:233], v[102:103], s[16:17], v[72:73]
	v_fma_f64 v[240:241], v[100:101], s[50:51], v[240:241]
	v_add_f64 v[208:209], v[216:217], v[208:209]
	v_fma_f64 v[216:217], v[108:109], s[18:19], v[248:249]
	v_fma_f64 v[74:75], v[84:85], s[18:19], -v[236:237]
	v_fma_f64 v[72:73], v[102:103], s[52:53], v[72:73]
	v_fma_f64 v[248:249], v[108:109], s[18:19], -v[248:249]
	v_add_f64 v[212:213], v[242:243], v[212:213]
	v_mul_f64 v[242:243], v[126:127], s[42:43]
	v_add_f64 v[38:39], v[38:39], v[46:47]
	v_add_f64 v[36:37], v[36:37], v[44:45]
	v_fma_f64 v[44:45], v[80:81], s[30:31], v[54:55]
	v_fma_f64 v[46:47], v[80:81], s[48:49], v[58:59]
	;; [unrolled: 1-line block ×3, first 2 shown]
	v_add_f64 v[220:221], v[226:227], v[220:221]
	v_fma_f64 v[226:227], v[84:85], s[18:19], v[236:237]
	v_add_f64 v[222:223], v[234:235], v[222:223]
	v_fma_f64 v[234:235], v[116:117], s[28:29], v[228:229]
	v_add_f64 v[236:237], v[8:9], v[238:239]
	v_add_f64 v[238:239], v[252:253], v[246:247]
	v_fma_f64 v[246:247], v[92:93], s[52:53], v[70:71]
	v_add_f64 v[210:211], v[244:245], v[210:211]
	v_mul_f64 v[244:245], v[118:119], s[30:31]
	v_fma_f64 v[228:229], v[116:117], s[28:29], -v[228:229]
	v_add_f64 v[208:209], v[240:241], v[208:209]
	v_fma_f64 v[240:241], v[110:111], s[24:25], v[230:231]
	v_add_f64 v[216:217], v[216:217], v[224:225]
	v_fma_f64 v[224:225], v[104:105], s[34:35], v[218:219]
	v_fma_f64 v[218:219], v[104:105], s[34:35], -v[218:219]
	v_add_f64 v[74:75], v[10:11], v[74:75]
	v_fma_f64 v[70:71], v[92:93], s[16:17], v[70:71]
	v_fma_f64 v[230:231], v[110:111], s[24:25], -v[230:231]
	v_add_f64 v[212:213], v[248:249], v[212:213]
	v_mul_f64 v[248:249], v[118:119], s[42:43]
	v_fma_f64 v[54:55], v[80:81], s[22:23], v[54:55]
	v_add_f64 v[32:33], v[32:33], v[36:37]
	v_add_f64 v[36:37], v[8:9], v[44:45]
	;; [unrolled: 1-line block ×5, first 2 shown]
	v_mul_f64 v[220:221], v[136:137], s[24:25]
	v_fma_f64 v[222:223], v[82:83], s[50:51], v[132:133]
	v_fma_f64 v[232:233], v[80:81], s[20:21], v[250:251]
	v_add_f64 v[234:235], v[8:9], v[66:67]
	v_add_f64 v[236:237], v[64:65], v[236:237]
	v_fma_f64 v[250:251], v[94:95], s[20:21], v[68:69]
	v_add_f64 v[238:239], v[246:247], v[238:239]
	v_mul_f64 v[246:247], v[140:141], s[24:25]
	v_add_f64 v[66:67], v[228:229], v[210:211]
	v_add_f64 v[64:65], v[72:73], v[208:209]
	v_mul_f64 v[72:73], v[142:143], s[14:15]
	v_mul_f64 v[208:209], v[120:121], s[38:39]
	v_add_f64 v[216:217], v[240:241], v[216:217]
	v_fma_f64 v[132:133], v[82:83], s[26:27], v[132:133]
	v_add_f64 v[74:75], v[218:219], v[74:75]
	v_fma_f64 v[68:69], v[94:95], s[36:37], v[68:69]
	v_mul_f64 v[218:219], v[90:91], s[50:51]
	v_add_f64 v[212:213], v[230:231], v[212:213]
	v_mul_f64 v[230:231], v[144:145], s[44:45]
	v_add_f64 v[210:211], v[224:225], v[226:227]
	v_fma_f64 v[224:225], v[106:107], s[24:25], v[244:245]
	v_fma_f64 v[226:227], v[112:113], s[14:15], v[214:215]
	v_fma_f64 v[214:215], v[112:113], s[14:15], -v[214:215]
	v_add_f64 v[34:35], v[34:35], v[38:39]
	v_add_f64 v[228:229], v[8:9], v[232:233]
	;; [unrolled: 1-line block ×3, first 2 shown]
	v_fma_f64 v[232:233], v[92:93], s[22:23], v[220:221]
	v_fma_f64 v[234:235], v[106:107], s[24:25], -v[244:245]
	v_add_f64 v[238:239], v[250:251], v[238:239]
	v_fma_f64 v[240:241], v[96:97], s[22:23], v[246:247]
	v_add_f64 v[70:71], v[70:71], v[236:237]
	v_mul_f64 v[236:237], v[138:139], s[40:41]
	v_fma_f64 v[220:221], v[92:93], s[30:31], v[220:221]
	v_fma_f64 v[244:245], v[108:109], s[40:41], v[208:209]
	;; [unrolled: 1-line block ×3, first 2 shown]
	v_fma_f64 v[208:209], v[108:109], s[40:41], -v[208:209]
	v_add_f64 v[38:39], v[8:9], v[46:47]
	v_mul_f64 v[44:45], v[120:121], s[6:7]
	v_add_f64 v[58:59], v[8:9], v[58:59]
	v_mul_f64 v[120:121], v[120:121], s[16:17]
	;; [unrolled: 2-line block ×3, first 2 shown]
	v_add_f64 v[210:211], v[224:225], v[210:211]
	v_fma_f64 v[224:225], v[114:115], s[44:45], v[242:243]
	v_add_f64 v[216:217], v[226:227], v[216:217]
	v_mul_f64 v[226:227], v[122:123], s[52:53]
	v_add_f64 v[132:133], v[132:133], v[228:229]
	v_mul_f64 v[228:229], v[86:87], s[0:1]
	v_add_f64 v[222:223], v[232:233], v[222:223]
	v_add_f64 v[74:75], v[234:235], v[74:75]
	v_mul_f64 v[234:235], v[140:141], s[28:29]
	v_add_f64 v[238:239], v[240:241], v[238:239]
	v_fma_f64 v[240:241], v[98:99], s[10:11], v[72:73]
	v_add_f64 v[68:69], v[68:69], v[70:71]
	v_fma_f64 v[70:71], v[94:95], s[0:1], v[236:237]
	v_fma_f64 v[232:233], v[84:85], s[34:35], v[218:219]
	;; [unrolled: 1-line block ×3, first 2 shown]
	v_add_f64 v[212:213], v[214:215], v[212:213]
	v_mul_f64 v[214:215], v[88:89], s[34:35]
	v_fma_f64 v[72:73], v[98:99], s[6:7], v[72:73]
	v_fma_f64 v[218:219], v[84:85], s[34:35], -v[218:219]
	v_fma_f64 v[242:243], v[114:115], s[44:45], -v[242:243]
	v_add_f64 v[32:33], v[40:41], v[32:33]
	v_add_f64 v[34:35], v[50:51], v[34:35]
	;; [unrolled: 1-line block ×3, first 2 shown]
	v_mul_f64 v[244:245], v[124:125], s[48:49]
	v_add_f64 v[216:217], v[224:225], v[216:217]
	v_fma_f64 v[224:225], v[110:111], s[28:29], v[226:227]
	v_add_f64 v[132:133], v[220:221], v[132:133]
	v_fma_f64 v[220:221], v[100:101], s[48:49], v[230:231]
	v_fma_f64 v[77:78], v[104:105], s[40:41], v[228:229]
	v_add_f64 v[74:75], v[208:209], v[74:75]
	v_mul_f64 v[208:209], v[126:127], s[6:7]
	v_fma_f64 v[226:227], v[110:111], s[28:29], -v[226:227]
	v_add_f64 v[238:239], v[240:241], v[238:239]
	v_mul_f64 v[240:241], v[142:143], s[44:45]
	v_add_f64 v[70:71], v[70:71], v[222:223]
	v_fma_f64 v[222:223], v[96:97], s[16:17], v[234:235]
	v_add_f64 v[68:69], v[246:247], v[68:69]
	v_add_f64 v[232:233], v[10:11], v[232:233]
	v_mul_f64 v[246:247], v[84:85], s[28:29]
	v_fma_f64 v[234:235], v[96:97], s[52:53], v[234:235]
	v_fma_f64 v[230:231], v[100:101], s[42:43], v[230:231]
	v_fma_f64 v[228:229], v[104:105], s[40:41], -v[228:229]
	v_add_f64 v[218:219], v[10:11], v[218:219]
	v_add_f64 v[212:213], v[242:243], v[212:213]
	v_mul_f64 v[242:243], v[122:123], s[6:7]
	v_mul_f64 v[122:123], v[122:123], s[50:51]
	v_add_f64 v[28:29], v[28:29], v[32:33]
	v_add_f64 v[210:211], v[224:225], v[210:211]
	v_fma_f64 v[224:225], v[112:113], s[44:45], v[244:245]
	v_add_f64 v[132:133], v[236:237], v[132:133]
	v_mul_f64 v[236:237], v[130:131], s[40:41]
	v_fma_f64 v[244:245], v[112:113], s[44:45], -v[244:245]
	v_add_f64 v[34:35], v[42:43], v[34:35]
	v_add_f64 v[74:75], v[226:227], v[74:75]
	;; [unrolled: 1-line block ×3, first 2 shown]
	v_fma_f64 v[238:239], v[80:81], s[26:27], v[214:215]
	v_fma_f64 v[214:215], v[80:81], s[50:51], v[214:215]
	v_add_f64 v[70:71], v[222:223], v[70:71]
	v_fma_f64 v[222:223], v[98:99], s[42:43], v[240:241]
	v_add_f64 v[68:69], v[72:73], v[68:69]
	v_add_f64 v[77:78], v[77:78], v[232:233]
	v_fma_f64 v[232:233], v[106:107], s[44:45], v[248:249]
	v_fma_f64 v[226:227], v[100:101], s[10:11], v[56:57]
	v_add_f64 v[200:201], v[246:247], -v[200:201]
	v_mul_f64 v[246:247], v[136:137], s[44:45]
	v_fma_f64 v[240:241], v[98:99], s[48:49], v[240:241]
	v_add_f64 v[218:219], v[228:229], v[218:219]
	v_mul_f64 v[228:229], v[84:85], s[12:13]
	v_fma_f64 v[248:249], v[106:107], s[44:45], -v[248:249]
	v_mul_f64 v[72:73], v[88:89], s[12:13]
	v_add_f64 v[210:211], v[224:225], v[210:211]
	v_fma_f64 v[224:225], v[114:115], s[14:15], v[208:209]
	v_add_f64 v[132:133], v[234:235], v[132:133]
	v_fma_f64 v[234:235], v[82:83], s[38:39], v[236:237]
	v_fma_f64 v[208:209], v[114:115], s[14:15], -v[208:209]
	v_add_f64 v[74:75], v[244:245], v[74:75]
	v_mul_f64 v[244:245], v[130:131], s[18:19]
	v_add_f64 v[238:239], v[8:9], v[238:239]
	v_add_f64 v[214:215], v[8:9], v[214:215]
	v_fma_f64 v[56:57], v[100:101], s[6:7], v[56:57]
	v_add_f64 v[70:71], v[222:223], v[70:71]
	v_mul_f64 v[222:223], v[104:105], s[14:15]
	v_add_f64 v[230:231], v[230:231], v[68:69]
	v_mul_f64 v[68:69], v[88:89], s[28:29]
	v_add_f64 v[77:78], v[232:233], v[77:78]
	v_fma_f64 v[232:233], v[108:109], s[12:13], v[52:53]
	v_add_f64 v[200:201], v[10:11], v[200:201]
	v_fma_f64 v[52:53], v[108:109], s[12:13], -v[52:53]
	v_mul_f64 v[79:80], v[136:137], s[12:13]
	v_add_f64 v[150:151], v[228:229], -v[150:151]
	v_add_f64 v[218:219], v[248:249], v[218:219]
	v_mul_f64 v[248:249], v[104:105], s[18:19]
	v_mul_f64 v[228:229], v[108:109], s[24:25]
	v_add_f64 v[210:211], v[224:225], v[210:211]
	v_fma_f64 v[224:225], v[82:83], s[0:1], v[236:237]
	v_add_f64 v[132:133], v[240:241], v[132:133]
	v_mul_f64 v[240:241], v[130:131], s[14:15]
	v_fma_f64 v[236:237], v[110:111], s[14:15], v[242:243]
	v_add_f64 v[74:75], v[208:209], v[74:75]
	v_add_f64 v[234:235], v[234:235], v[238:239]
	v_fma_f64 v[238:239], v[92:93], s[48:49], v[246:247]
	v_fma_f64 v[246:247], v[92:93], s[42:43], v[246:247]
	v_add_f64 v[226:227], v[226:227], v[70:71]
	v_mul_f64 v[70:71], v[106:107], s[34:35]
	v_add_f64 v[202:203], v[222:223], -v[202:203]
	v_mul_f64 v[222:223], v[138:139], s[12:13]
	v_add_f64 v[68:69], v[174:175], v[68:69]
	v_add_f64 v[77:78], v[232:233], v[77:78]
	v_mul_f64 v[232:233], v[124:125], s[52:53]
	v_mul_f64 v[208:209], v[136:137], s[34:35]
	v_add_f64 v[72:73], v[148:149], v[72:73]
	v_add_f64 v[150:151], v[10:11], v[150:151]
	v_mul_f64 v[174:175], v[136:137], s[14:15]
	v_add_f64 v[162:163], v[248:249], -v[162:163]
	v_fma_f64 v[242:243], v[110:111], s[14:15], -v[242:243]
	v_add_f64 v[52:53], v[52:53], v[218:219]
	v_add_f64 v[214:215], v[224:225], v[214:215]
	v_mul_f64 v[224:225], v[106:107], s[14:15]
	v_add_f64 v[176:177], v[176:177], v[240:241]
	v_mul_f64 v[240:241], v[138:139], s[24:25]
	;; [unrolled: 2-line block ×4, first 2 shown]
	v_add_f64 v[196:197], v[228:229], -v[196:197]
	v_add_f64 v[70:71], v[70:71], -v[194:195]
	v_mul_f64 v[194:195], v[140:141], s[14:15]
	v_add_f64 v[200:201], v[202:203], v[200:201]
	v_fma_f64 v[202:203], v[94:95], s[46:47], v[222:223]
	v_add_f64 v[68:69], v[8:9], v[68:69]
	v_add_f64 v[77:78], v[236:237], v[77:78]
	v_fma_f64 v[236:237], v[112:113], s[28:29], v[232:233]
	v_fma_f64 v[222:223], v[94:95], s[4:5], v[222:223]
	v_add_f64 v[186:187], v[186:187], v[208:209]
	v_mul_f64 v[228:229], v[128:129], s[50:51]
	v_add_f64 v[150:151], v[162:163], v[150:151]
	v_add_f64 v[152:153], v[152:153], v[244:245]
	;; [unrolled: 1-line block ×4, first 2 shown]
	v_add_f64 v[164:165], v[224:225], -v[164:165]
	v_mul_f64 v[224:225], v[128:129], s[46:47]
	v_add_f64 v[180:181], v[180:181], v[240:241]
	v_mul_f64 v[238:239], v[138:139], s[34:35]
	v_mul_f64 v[246:247], v[110:111], s[44:45]
	;; [unrolled: 1-line block ×3, first 2 shown]
	v_add_f64 v[52:53], v[242:243], v[52:53]
	v_fma_f64 v[232:233], v[112:113], s[28:29], -v[232:233]
	v_add_f64 v[198:199], v[248:249], -v[198:199]
	v_mul_f64 v[240:241], v[142:143], s[28:29]
	v_add_f64 v[70:71], v[70:71], v[200:201]
	v_fma_f64 v[200:201], v[96:97], s[10:11], v[194:195]
	v_add_f64 v[202:203], v[202:203], v[234:235]
	v_add_f64 v[68:69], v[176:177], v[68:69]
	;; [unrolled: 1-line block ×3, first 2 shown]
	v_mul_f64 v[236:237], v[140:141], s[12:13]
	v_fma_f64 v[194:195], v[96:97], s[6:7], v[194:195]
	v_mul_f64 v[176:177], v[112:113], s[40:41]
	v_add_f64 v[166:167], v[56:57], -v[166:167]
	v_add_f64 v[158:159], v[158:159], v[174:175]
	v_add_f64 v[72:73], v[152:153], v[72:73]
	;; [unrolled: 1-line block ×4, first 2 shown]
	v_fma_f64 v[252:253], v[116:117], s[12:13], -v[224:225]
	v_mul_f64 v[148:149], v[112:113], s[24:25]
	v_add_f64 v[154:155], v[154:155], v[238:239]
	v_add_f64 v[170:171], v[246:247], -v[170:171]
	v_add_f64 v[184:185], v[184:185], v[208:209]
	v_mul_f64 v[218:219], v[140:141], s[44:45]
	v_add_f64 v[232:233], v[232:233], v[52:53]
	v_mul_f64 v[242:243], v[144:145], s[28:29]
	v_mul_f64 v[164:165], v[146:147], s[44:45]
	v_add_f64 v[70:71], v[196:197], v[70:71]
	v_fma_f64 v[196:197], v[116:117], s[34:35], v[228:229]
	v_add_f64 v[200:201], v[200:201], v[202:203]
	v_mul_f64 v[202:203], v[126:127], s[30:31]
	v_add_f64 v[68:69], v[186:187], v[68:69]
	v_add_f64 v[182:183], v[182:183], v[236:237]
	v_mul_f64 v[162:163], v[144:145], s[18:19]
	v_add_f64 v[176:177], v[176:177], -v[206:207]
	v_mul_f64 v[206:207], v[116:117], s[44:45]
	v_add_f64 v[8:9], v[8:9], v[54:55]
	v_add_f64 v[72:73], v[158:159], v[72:73]
	;; [unrolled: 1-line block ×3, first 2 shown]
	v_mul_f64 v[214:215], v[146:147], s[12:13]
	v_add_f64 v[150:151], v[166:167], v[150:151]
	v_add_f64 v[148:149], v[148:149], -v[172:173]
	v_mul_f64 v[54:55], v[138:139], s[28:29]
	v_mul_f64 v[234:235], v[142:143], s[24:25]
	v_mul_f64 v[222:223], v[114:115], s[28:29]
	v_add_f64 v[156:157], v[156:157], v[218:219]
	v_add_f64 v[24:25], v[24:25], v[28:29]
	v_fma_f64 v[228:229], v[116:117], s[34:35], -v[228:229]
	v_add_f64 v[164:165], v[190:191], v[164:165]
	v_add_f64 v[198:199], v[198:199], v[70:71]
	;; [unrolled: 1-line block ×4, first 2 shown]
	v_fma_f64 v[174:175], v[114:115], s[24:25], v[202:203]
	v_add_f64 v[68:69], v[180:181], v[68:69]
	v_fma_f64 v[196:197], v[98:99], s[16:17], v[240:241]
	v_add_f64 v[162:163], v[188:189], v[162:163]
	v_mul_f64 v[40:41], v[124:125], s[26:27]
	v_add_f64 v[172:173], v[206:207], -v[192:193]
	v_mul_f64 v[192:193], v[86:87], s[16:17]
	v_add_f64 v[72:73], v[154:155], v[72:73]
	v_mul_f64 v[154:155], v[130:131], s[28:29]
	v_fma_f64 v[216:217], v[102:103], s[4:5], v[214:215]
	v_fma_f64 v[74:75], v[102:103], s[46:47], v[214:215]
	v_fma_f64 v[214:215], v[98:99], s[52:53], v[240:241]
	v_add_f64 v[88:89], v[170:171], v[150:151]
	v_mul_f64 v[86:87], v[86:87], s[48:49]
	v_mul_f64 v[130:131], v[130:131], s[44:45]
	v_add_f64 v[178:179], v[222:223], -v[178:179]
	v_add_f64 v[160:161], v[160:161], v[234:235]
	v_fma_f64 v[42:43], v[108:109], s[14:15], v[44:45]
	v_add_f64 v[30:31], v[30:31], v[34:35]
	v_add_f64 v[20:21], v[20:21], v[24:25]
	;; [unrolled: 1-line block ×3, first 2 shown]
	v_fma_f64 v[212:213], v[116:117], s[12:13], v[224:225]
	v_add_f64 v[77:78], v[174:175], v[77:78]
	v_mul_f64 v[174:175], v[90:91], s[48:49]
	v_add_f64 v[68:69], v[182:183], v[68:69]
	v_mul_f64 v[90:91], v[90:91], s[30:31]
	v_add_f64 v[196:197], v[196:197], v[200:201]
	v_fma_f64 v[224:225], v[116:117], s[18:19], v[254:255]
	v_fma_f64 v[188:189], v[104:105], s[28:29], -v[192:193]
	v_add_f64 v[72:73], v[156:157], v[72:73]
	v_fma_f64 v[156:157], v[82:83], s[16:17], v[154:155]
	v_fma_f64 v[46:47], v[104:105], s[28:29], v[192:193]
	;; [unrolled: 1-line block ×3, first 2 shown]
	v_add_f64 v[170:171], v[214:215], v[194:195]
	v_add_f64 v[88:89], v[148:149], v[88:89]
	;; [unrolled: 1-line block ×3, first 2 shown]
	v_mul_f64 v[192:193], v[138:139], s[14:15]
	v_fma_f64 v[138:139], v[108:109], s[14:15], -v[44:45]
	v_mul_f64 v[124:125], v[124:125], s[20:21]
	v_mul_f64 v[248:249], v[114:115], s[18:19]
	v_add_f64 v[26:27], v[26:27], v[30:31]
	v_mul_f64 v[152:153], v[144:145], s[24:25]
	v_mul_f64 v[250:251], v[116:117], s[40:41]
	;; [unrolled: 1-line block ×3, first 2 shown]
	v_add_f64 v[176:177], v[176:177], v[198:199]
	v_fma_f64 v[194:195], v[84:85], s[44:45], -v[174:175]
	v_add_f64 v[68:69], v[184:185], v[68:69]
	v_fma_f64 v[184:185], v[84:85], s[24:25], -v[90:91]
	v_fma_f64 v[168:169], v[84:85], s[44:45], v[174:175]
	v_mul_f64 v[174:175], v[118:119], s[20:21]
	v_fma_f64 v[84:85], v[84:85], s[24:25], v[90:91]
	v_mul_f64 v[90:91], v[118:119], s[4:5]
	v_fma_f64 v[118:119], v[104:105], s[44:45], -v[86:87]
	v_fma_f64 v[86:87], v[104:105], s[44:45], v[86:87]
	v_add_f64 v[38:39], v[156:157], v[38:39]
	v_add_f64 v[58:59], v[154:155], v[58:59]
	v_fma_f64 v[202:203], v[114:115], s[24:25], -v[202:203]
	v_mul_f64 v[166:167], v[146:147], s[18:19]
	v_fma_f64 v[156:157], v[94:95], s[6:7], v[192:193]
	v_mul_f64 v[186:187], v[146:147], s[34:35]
	v_fma_f64 v[182:183], v[116:117], s[18:19], -v[254:255]
	v_add_f64 v[204:205], v[248:249], -v[204:205]
	v_add_f64 v[22:23], v[22:23], v[26:27]
	v_fma_f64 v[158:159], v[100:101], s[22:23], v[152:153]
	v_fma_f64 v[152:153], v[100:101], s[30:31], v[152:153]
	v_add_f64 v[190:191], v[10:11], v[194:195]
	v_mul_f64 v[194:195], v[136:137], s[18:19]
	v_add_f64 v[136:137], v[10:11], v[184:185]
	v_fma_f64 v[184:185], v[82:83], s[48:49], v[130:131]
	v_add_f64 v[168:169], v[10:11], v[168:169]
	v_add_f64 v[10:11], v[10:11], v[84:85]
	v_fma_f64 v[81:82], v[82:83], s[42:43], v[130:131]
	v_fma_f64 v[83:84], v[106:107], s[12:13], -v[90:91]
	v_fma_f64 v[90:91], v[106:107], s[12:13], v[90:91]
	v_fma_f64 v[200:201], v[106:107], s[18:19], -v[174:175]
	v_fma_f64 v[50:51], v[106:107], s[18:19], v[174:175]
	v_mul_f64 v[130:131], v[140:141], s[40:41]
	v_add_f64 v[68:69], v[162:163], v[68:69]
	v_add_f64 v[198:199], v[202:203], v[232:233]
	v_fma_f64 v[150:151], v[102:103], s[20:21], v[166:167]
	v_fma_f64 v[180:181], v[102:103], s[26:27], v[186:187]
	v_add_f64 v[176:177], v[204:205], v[176:177]
	v_add_f64 v[18:19], v[18:19], v[22:23]
	;; [unrolled: 1-line block ×3, first 2 shown]
	v_fma_f64 v[186:187], v[102:103], s[50:51], v[186:187]
	v_add_f64 v[188:189], v[188:189], v[190:191]
	v_fma_f64 v[190:191], v[92:93], s[20:21], v[194:195]
	v_add_f64 v[104:105], v[118:119], v[136:137]
	;; [unrolled: 2-line block ×5, first 2 shown]
	v_mul_f64 v[81:82], v[140:141], s[34:35]
	v_fma_f64 v[85:86], v[108:109], s[28:29], -v[120:121]
	v_fma_f64 v[92:93], v[94:95], s[16:17], v[54:55]
	v_add_f64 v[46:47], v[46:47], v[168:169]
	v_fma_f64 v[54:55], v[94:95], s[52:53], v[54:55]
	v_fma_f64 v[108:109], v[108:109], s[28:29], v[120:121]
	v_add_f64 v[16:17], v[172:173], v[176:177]
	v_add_f64 v[154:155], v[200:201], v[188:189]
	;; [unrolled: 1-line block ×4, first 2 shown]
	v_fma_f64 v[104:105], v[110:111], s[40:41], -v[48:49]
	v_add_f64 v[36:37], v[118:119], v[36:37]
	v_add_f64 v[58:59], v[136:137], v[58:59]
	;; [unrolled: 1-line block ×3, first 2 shown]
	v_fma_f64 v[90:91], v[110:111], s[34:35], -v[122:123]
	v_add_f64 v[8:9], v[79:80], v[8:9]
	v_mul_f64 v[79:80], v[142:143], s[18:19]
	v_fma_f64 v[118:119], v[96:97], s[0:1], v[130:131]
	v_add_f64 v[44:45], v[50:51], v[46:47]
	v_fma_f64 v[50:51], v[94:95], s[10:11], v[192:193]
	v_mul_f64 v[46:47], v[142:143], s[34:35]
	v_add_f64 v[106:107], v[138:139], v[154:155]
	v_add_f64 v[34:35], v[156:157], v[38:39]
	;; [unrolled: 1-line block ×3, first 2 shown]
	v_fma_f64 v[85:86], v[96:97], s[50:51], v[81:82]
	v_add_f64 v[32:33], v[92:93], v[36:37]
	v_fma_f64 v[81:82], v[96:97], s[26:27], v[81:82]
	v_fma_f64 v[38:39], v[110:111], s[40:41], v[48:49]
	;; [unrolled: 1-line block ×3, first 2 shown]
	v_add_f64 v[8:9], v[54:55], v[8:9]
	v_mul_f64 v[36:37], v[126:127], s[46:47]
	v_add_f64 v[10:11], v[108:109], v[10:11]
	v_mul_f64 v[54:55], v[144:145], s[40:41]
	v_add_f64 v[42:43], v[42:43], v[44:45]
	v_add_f64 v[50:51], v[50:51], v[58:59]
	v_fma_f64 v[58:59], v[112:113], s[34:35], -v[40:41]
	v_fma_f64 v[96:97], v[112:113], s[18:19], -v[124:125]
	v_mul_f64 v[44:45], v[144:145], s[12:13]
	v_fma_f64 v[94:95], v[98:99], s[26:27], v[46:47]
	v_add_f64 v[92:93], v[104:105], v[106:107]
	v_add_f64 v[30:31], v[118:119], v[34:35]
	;; [unrolled: 1-line block ×3, first 2 shown]
	v_fma_f64 v[90:91], v[98:99], s[20:21], v[79:80]
	v_add_f64 v[28:29], v[85:86], v[32:33]
	v_fma_f64 v[34:35], v[112:113], s[34:35], v[40:41]
	v_mul_f64 v[40:41], v[146:147], s[24:25]
	v_fma_f64 v[79:80], v[98:99], s[36:37], v[79:80]
	v_add_f64 v[8:9], v[81:82], v[8:9]
	v_fma_f64 v[106:107], v[110:111], s[34:35], v[122:123]
	v_mul_f64 v[104:105], v[126:127], s[38:39]
	v_mul_f64 v[85:86], v[128:129], s[6:7]
	v_add_f64 v[38:39], v[38:39], v[42:43]
	v_fma_f64 v[42:43], v[98:99], s[50:51], v[46:47]
	v_add_f64 v[46:47], v[48:49], v[50:51]
	v_fma_f64 v[48:49], v[114:115], s[12:13], -v[36:37]
	v_mul_f64 v[81:82], v[146:147], s[14:15]
	v_mul_f64 v[32:33], v[128:129], s[22:23]
	v_fma_f64 v[36:37], v[114:115], s[12:13], v[36:37]
	v_add_f64 v[50:51], v[58:59], v[92:93]
	v_fma_f64 v[92:93], v[112:113], s[18:19], v[124:125]
	v_add_f64 v[83:84], v[96:97], v[83:84]
	;; [unrolled: 2-line block ×3, first 2 shown]
	v_add_f64 v[28:29], v[160:161], v[72:73]
	v_add_f64 v[72:73], v[178:179], v[88:89]
	s_clause 0x1
	buffer_load_dword v87, off, s[56:59], 0 offset:8
	buffer_load_dword v88, off, s[56:59], 0 offset:12
	v_add_f64 v[8:9], v[79:80], v[8:9]
	v_fma_f64 v[79:80], v[102:103], s[22:23], v[40:41]
	v_fma_f64 v[110:111], v[102:103], s[30:31], v[40:41]
	v_add_f64 v[40:41], v[224:225], v[77:78]
	s_clause 0x1
	buffer_load_dword v224, off, s[56:59], 0
	buffer_load_dword v225, off, s[56:59], 0 offset:4
	v_add_f64 v[10:11], v[106:107], v[10:11]
	v_fma_f64 v[98:99], v[114:115], s[40:41], -v[104:105]
	v_fma_f64 v[58:59], v[100:101], s[46:47], v[44:45]
	v_add_f64 v[26:27], v[94:95], v[30:31]
	v_add_f64 v[34:35], v[34:35], v[38:39]
	v_fma_f64 v[38:39], v[100:101], s[4:5], v[44:45]
	v_add_f64 v[42:43], v[42:43], v[46:47]
	v_fma_f64 v[54:55], v[100:101], s[0:1], v[54:55]
	v_add_f64 v[30:31], v[250:251], -v[134:135]
	v_add_f64 v[46:47], v[48:49], v[50:51]
	v_fma_f64 v[48:49], v[114:115], s[40:41], v[104:105]
	v_fma_f64 v[89:90], v[116:117], s[14:15], -v[85:86]
	v_fma_f64 v[44:45], v[116:117], s[24:25], -v[32:33]
	v_add_f64 v[104:105], v[158:159], v[196:197]
	v_fma_f64 v[106:107], v[116:117], s[24:25], v[32:33]
	v_fma_f64 v[85:86], v[116:117], s[14:15], v[85:86]
	v_add_f64 v[32:33], v[14:15], v[18:19]
	v_add_f64 v[14:15], v[164:165], v[68:69]
	v_add_f64 v[68:69], v[74:75], v[132:133]
	v_add_f64 v[50:51], v[92:93], v[10:11]
	v_add_f64 v[83:84], v[98:99], v[83:84]
	v_fma_f64 v[91:92], v[102:103], s[6:7], v[81:82]
	v_add_f64 v[93:94], v[96:97], v[24:25]
	v_add_f64 v[58:59], v[58:59], v[26:27]
	;; [unrolled: 1-line block ×4, first 2 shown]
	v_fma_f64 v[99:100], v[102:103], s[36:37], v[166:167]
	v_add_f64 v[108:109], v[36:37], v[34:35]
	v_add_f64 v[42:43], v[38:39], v[42:43]
	v_fma_f64 v[81:82], v[102:103], s[10:11], v[81:82]
	v_add_f64 v[101:102], v[54:55], v[8:9]
	v_add_f64 v[20:21], v[30:31], v[72:73]
	;; [unrolled: 1-line block ×8, first 2 shown]
	v_mad_u32_u24 v12, 0x110, v76, 0
	v_add_f64 v[48:49], v[48:49], v[50:51]
	v_add_f64 v[28:29], v[89:90], v[83:84]
	v_add_f64 v[50:51], v[180:181], v[220:221]
	v_add_f64 v[26:27], v[91:92], v[93:94]
	v_add_f64 v[22:23], v[79:80], v[58:59]
	v_add_f64 v[8:9], v[150:151], v[97:98]
	v_add_f64 v[38:39], v[99:100], v[104:105]
	v_add_f64 v[44:45], v[106:107], v[108:109]
	v_add_f64 v[42:43], v[110:111], v[42:43]
	v_add_f64 v[46:47], v[81:82], v[101:102]
	v_add_f64 v[48:49], v[85:86], v[48:49]
	s_waitcnt vmcnt(2)
	v_add_f64 v[87:88], v[87:88], v[244:245]
	v_add_f64 v[18:19], v[87:88], v[95:96]
	ds_write_b128 v12, v[30:33]
	ds_write_b128 v12, v[26:29] offset:16
	ds_write_b128 v12, v[22:25] offset:32
	;; [unrolled: 1-line block ×16, first 2 shown]
.LBB0_13:
	s_or_b32 exec_lo, exec_lo, s33
	v_and_b32_e32 v8, 0xff, v76
	v_mov_b32_e32 v9, 12
	s_waitcnt vmcnt(0) lgkmcnt(0)
	s_waitcnt_vscnt null, 0x0
	s_barrier
	buffer_gl0_inv
	v_mul_lo_u16 v8, 0xf1, v8
	v_lshl_add_u32 v77, v76, 4, 0
	s_mov_b32 s28, 0x4267c47c
	s_mov_b32 s26, 0x42a4c3d2
	;; [unrolled: 1-line block ×3, first 2 shown]
	v_lshrrev_b16 v148, 12, v8
	s_mov_b32 s6, 0x2ef20147
	s_mov_b32 s16, 0x24c2f84
	;; [unrolled: 1-line block ×4, first 2 shown]
	v_mul_lo_u16 v8, v148, 17
	s_mov_b32 s27, 0xbfea55e2
	s_mov_b32 s19, 0xbfefc445
	;; [unrolled: 1-line block ×4, first 2 shown]
	v_sub_nc_u16 v149, v76, v8
	s_mov_b32 s41, 0xbfcea1e5
	s_mov_b32 s34, 0x93053d00
	;; [unrolled: 1-line block ×4, first 2 shown]
	v_mul_u32_u24_sdwa v8, v149, v9 dst_sel:DWORD dst_unused:UNUSED_PAD src0_sel:BYTE_0 src1_sel:DWORD
	s_mov_b32 s0, 0xebaa3ed8
	s_mov_b32 s11, 0x3fe22d96
	;; [unrolled: 1-line block ×4, first 2 shown]
	v_lshlrev_b32_e32 v68, 4, v8
	s_mov_b32 s12, 0xb2365da1
	s_mov_b32 s20, 0xd0032e0c
	;; [unrolled: 1-line block ×4, first 2 shown]
	s_clause 0x7
	global_load_dwordx4 v[32:35], v68, s[8:9]
	global_load_dwordx4 v[20:23], v68, s[8:9] offset:16
	global_load_dwordx4 v[12:15], v68, s[8:9] offset:32
	;; [unrolled: 1-line block ×7, first 2 shown]
	ds_read_b128 v[40:43], v77 offset:816
	ds_read_b128 v[84:87], v77
	ds_read_b128 v[44:47], v77 offset:1632
	ds_read_b128 v[48:51], v77 offset:2448
	s_mov_b32 s21, 0xbfe7f3cc
	s_mov_b32 s25, 0x3fddbe06
	;; [unrolled: 1-line block ×13, first 2 shown]
	s_waitcnt vmcnt(7) lgkmcnt(3)
	v_mul_f64 v[52:53], v[42:43], v[34:35]
	v_mul_f64 v[34:35], v[40:41], v[34:35]
	s_waitcnt vmcnt(6) lgkmcnt(1)
	v_mul_f64 v[54:55], v[46:47], v[22:23]
	v_mul_f64 v[22:23], v[44:45], v[22:23]
	v_fma_f64 v[78:79], v[40:41], v[32:33], v[52:53]
	v_fma_f64 v[82:83], v[42:43], v[32:33], -v[34:35]
	v_fma_f64 v[32:33], v[44:45], v[20:21], v[54:55]
	v_fma_f64 v[34:35], v[46:47], v[20:21], -v[22:23]
	ds_read_b128 v[20:23], v77 offset:3264
	ds_read_b128 v[52:55], v77 offset:4080
	s_waitcnt vmcnt(5) lgkmcnt(2)
	v_mul_f64 v[40:41], v[50:51], v[14:15]
	v_mul_f64 v[14:15], v[48:49], v[14:15]
	s_waitcnt vmcnt(4) lgkmcnt(1)
	v_mul_f64 v[44:45], v[22:23], v[10:11]
	v_mul_f64 v[10:11], v[20:21], v[10:11]
	s_waitcnt vmcnt(3) lgkmcnt(0)
	v_mul_f64 v[46:47], v[54:55], v[38:39]
	v_fma_f64 v[40:41], v[48:49], v[12:13], v[40:41]
	v_fma_f64 v[42:43], v[50:51], v[12:13], -v[14:15]
	v_mul_f64 v[48:49], v[52:53], v[38:39]
	v_fma_f64 v[38:39], v[20:21], v[8:9], v[44:45]
	v_fma_f64 v[44:45], v[22:23], v[8:9], -v[10:11]
	ds_read_b128 v[8:11], v77 offset:4896
	ds_read_b128 v[12:15], v77 offset:5712
	v_fma_f64 v[46:47], v[52:53], v[36:37], v[46:47]
	v_fma_f64 v[36:37], v[54:55], v[36:37], -v[48:49]
	s_waitcnt vmcnt(2) lgkmcnt(1)
	v_mul_f64 v[20:21], v[10:11], v[30:31]
	v_mul_f64 v[22:23], v[8:9], v[30:31]
	s_waitcnt vmcnt(1) lgkmcnt(0)
	v_mul_f64 v[30:31], v[14:15], v[26:27]
	v_mul_f64 v[26:27], v[12:13], v[26:27]
	v_fma_f64 v[48:49], v[8:9], v[28:29], v[20:21]
	v_fma_f64 v[50:51], v[10:11], v[28:29], -v[22:23]
	ds_read_b128 v[20:23], v77 offset:6528
	global_load_dwordx4 v[8:11], v68, s[8:9] offset:128
	v_fma_f64 v[52:53], v[12:13], v[24:25], v[30:31]
	v_fma_f64 v[54:55], v[14:15], v[24:25], -v[26:27]
	ds_read_b128 v[12:15], v77 offset:7344
	s_waitcnt vmcnt(1) lgkmcnt(1)
	v_mul_f64 v[24:25], v[22:23], v[18:19]
	v_mul_f64 v[18:19], v[20:21], v[18:19]
	v_add_f64 v[158:159], v[48:49], v[52:53]
	v_add_f64 v[164:165], v[48:49], -v[52:53]
	v_fma_f64 v[56:57], v[20:21], v[16:17], v[24:25]
	v_fma_f64 v[58:59], v[22:23], v[16:17], -v[18:19]
	global_load_dwordx4 v[16:19], v68, s[8:9] offset:144
	v_add_f64 v[138:139], v[36:37], -v[58:59]
	v_add_f64 v[142:143], v[36:37], v[58:59]
	v_mul_f64 v[152:153], v[138:139], s[16:17]
	v_mul_f64 v[154:155], v[142:143], s[20:21]
	s_waitcnt vmcnt(1) lgkmcnt(0)
	v_mul_f64 v[20:21], v[14:15], v[10:11]
	v_mul_f64 v[10:11], v[12:13], v[10:11]
	v_fma_f64 v[60:61], v[12:13], v[8:9], v[20:21]
	v_fma_f64 v[62:63], v[14:15], v[8:9], -v[10:11]
	ds_read_b128 v[8:11], v77 offset:8160
	ds_read_b128 v[12:15], v77 offset:8976
	s_waitcnt vmcnt(0) lgkmcnt(1)
	v_mul_f64 v[20:21], v[10:11], v[18:19]
	v_add_f64 v[128:129], v[44:45], -v[62:63]
	v_add_f64 v[130:131], v[44:45], v[62:63]
	v_fma_f64 v[64:65], v[8:9], v[16:17], v[20:21]
	v_mul_f64 v[8:9], v[8:9], v[18:19]
	v_mul_f64 v[150:151], v[130:131], s[12:13]
	v_fma_f64 v[66:67], v[10:11], v[16:17], -v[8:9]
	s_clause 0x1
	global_load_dwordx4 v[8:11], v68, s[8:9] offset:160
	global_load_dwordx4 v[16:19], v68, s[8:9] offset:176
	s_waitcnt vmcnt(1) lgkmcnt(0)
	v_mul_f64 v[20:21], v[14:15], v[10:11]
	v_mul_f64 v[10:11], v[12:13], v[10:11]
	v_fma_f64 v[68:69], v[12:13], v[8:9], v[20:21]
	v_fma_f64 v[70:71], v[14:15], v[8:9], -v[10:11]
	ds_read_b128 v[8:11], v77 offset:9792
	s_waitcnt vmcnt(0) lgkmcnt(0)
	s_barrier
	buffer_gl0_inv
	v_mul_f64 v[12:13], v[8:9], v[18:19]
	v_fma_f64 v[72:73], v[10:11], v[16:17], -v[12:13]
	v_mul_f64 v[10:11], v[10:11], v[18:19]
	v_fma_f64 v[74:75], v[8:9], v[16:17], v[10:11]
	v_add_f64 v[8:9], v[82:83], -v[72:73]
	v_add_f64 v[20:21], v[78:79], v[74:75]
	v_mul_f64 v[10:11], v[8:9], s[28:29]
	v_mul_f64 v[12:13], v[8:9], s[26:27]
	;; [unrolled: 1-line block ×6, first 2 shown]
	v_add_f64 v[98:99], v[78:79], -v[74:75]
	v_fma_f64 v[22:23], v[20:21], s[14:15], v[10:11]
	v_fma_f64 v[10:11], v[20:21], s[14:15], -v[10:11]
	v_fma_f64 v[28:29], v[20:21], s[0:1], v[14:15]
	v_fma_f64 v[30:31], v[20:21], s[0:1], -v[14:15]
	v_fma_f64 v[24:25], v[20:21], s[10:11], v[12:13]
	v_fma_f64 v[92:93], v[20:21], s[34:35], v[8:9]
	v_fma_f64 v[96:97], v[20:21], s[34:35], -v[8:9]
	v_add_f64 v[8:9], v[82:83], v[72:73]
	v_fma_f64 v[26:27], v[20:21], s[10:11], -v[12:13]
	v_fma_f64 v[88:89], v[20:21], s[12:13], v[16:17]
	v_fma_f64 v[16:17], v[20:21], s[12:13], -v[16:17]
	v_fma_f64 v[90:91], v[20:21], s[20:21], v[18:19]
	v_fma_f64 v[18:19], v[20:21], s[20:21], -v[18:19]
	v_add_f64 v[82:83], v[86:87], v[82:83]
	v_add_f64 v[10:11], v[84:85], v[10:11]
	;; [unrolled: 1-line block ×3, first 2 shown]
	v_mul_f64 v[14:15], v[8:9], s[10:11]
	v_mul_f64 v[12:13], v[8:9], s[14:15]
	;; [unrolled: 1-line block ×6, first 2 shown]
	v_add_f64 v[114:115], v[84:85], v[88:89]
	v_fma_f64 v[104:105], v[98:99], s[26:27], v[14:15]
	v_fma_f64 v[100:101], v[98:99], s[24:25], v[12:13]
	;; [unrolled: 1-line block ×12, first 2 shown]
	v_add_f64 v[14:15], v[84:85], v[24:25]
	v_add_f64 v[80:81], v[84:85], v[78:79]
	;; [unrolled: 1-line block ×7, first 2 shown]
	v_add_f64 v[104:105], v[34:35], -v[70:71]
	v_add_f64 v[8:9], v[86:87], v[12:13]
	v_add_f64 v[12:13], v[86:87], v[102:103]
	;; [unrolled: 1-line block ×8, first 2 shown]
	v_add_f64 v[120:121], v[42:43], -v[66:67]
	v_add_f64 v[124:125], v[86:87], v[100:101]
	v_add_f64 v[28:29], v[86:87], v[108:109]
	;; [unrolled: 1-line block ×9, first 2 shown]
	v_add_f64 v[96:97], v[32:33], -v[68:69]
	v_add_f64 v[116:117], v[40:41], v[64:65]
	v_add_f64 v[122:123], v[42:43], v[66:67]
	v_mul_f64 v[132:133], v[104:105], s[26:27]
	v_add_f64 v[118:119], v[40:41], -v[64:65]
	v_add_f64 v[32:33], v[80:81], v[32:33]
	v_add_f64 v[34:35], v[82:83], v[34:35]
	v_mul_f64 v[134:135], v[106:107], s[10:11]
	v_mul_f64 v[144:145], v[120:121], s[18:19]
	;; [unrolled: 1-line block ×3, first 2 shown]
	v_fma_f64 v[16:17], v[92:93], s[10:11], v[132:133]
	v_fma_f64 v[132:133], v[92:93], s[10:11], -v[132:133]
	v_add_f64 v[32:33], v[32:33], v[40:41]
	v_add_f64 v[34:35], v[34:35], v[42:43]
	v_fma_f64 v[18:19], v[96:97], s[22:23], v[134:135]
	v_add_f64 v[16:17], v[16:17], v[78:79]
	v_fma_f64 v[78:79], v[116:117], s[0:1], v[144:145]
	;; [unrolled: 2-line block ×3, first 2 shown]
	v_add_f64 v[32:33], v[32:33], v[38:39]
	v_add_f64 v[34:35], v[34:35], v[44:45]
	;; [unrolled: 1-line block ×5, first 2 shown]
	v_fma_f64 v[78:79], v[118:119], s[4:5], v[146:147]
	v_add_f64 v[8:9], v[132:133], v[8:9]
	v_fma_f64 v[132:133], v[116:117], s[0:1], -v[144:145]
	v_add_f64 v[32:33], v[32:33], v[46:47]
	v_add_f64 v[34:35], v[34:35], v[36:37]
	v_mov_b32_e32 v36, 0xdd0
	v_mov_b32_e32 v37, 4
	v_mul_u32_u24_sdwa v36, v148, v36 dst_sel:DWORD dst_unused:UNUSED_PAD src0_sel:WORD_0 src1_sel:DWORD
	v_lshlrev_b32_sdwa v37, v37, v149 dst_sel:DWORD dst_unused:UNUSED_PAD src0_sel:DWORD src1_sel:BYTE_0
	v_add3_u32 v36, 0, v36, v37
	v_add_f64 v[18:19], v[78:79], v[18:19]
	v_mul_f64 v[78:79], v[128:129], s[6:7]
	v_add_f64 v[10:11], v[132:133], v[10:11]
	v_fma_f64 v[132:133], v[118:119], s[18:19], v[146:147]
	v_add_f64 v[32:33], v[32:33], v[48:49]
	v_add_f64 v[34:35], v[34:35], v[50:51]
	v_fma_f64 v[126:127], v[124:125], s[12:13], v[78:79]
	v_fma_f64 v[78:79], v[124:125], s[12:13], -v[78:79]
	v_add_f64 v[8:9], v[132:133], v[8:9]
	v_add_f64 v[32:33], v[32:33], v[52:53]
	;; [unrolled: 1-line block ×4, first 2 shown]
	v_add_f64 v[126:127], v[38:39], -v[60:61]
	v_add_f64 v[10:11], v[78:79], v[10:11]
	v_add_f64 v[32:33], v[32:33], v[56:57]
	;; [unrolled: 1-line block ×3, first 2 shown]
	v_fma_f64 v[136:137], v[126:127], s[30:31], v[150:151]
	v_fma_f64 v[78:79], v[126:127], s[6:7], v[150:151]
	v_add_f64 v[32:33], v[32:33], v[60:61]
	v_add_f64 v[34:35], v[34:35], v[62:63]
	v_add_f64 v[18:19], v[136:137], v[18:19]
	v_add_f64 v[136:137], v[46:47], v[56:57]
	v_add_f64 v[8:9], v[78:79], v[8:9]
	v_add_f64 v[32:33], v[32:33], v[64:65]
	v_add_f64 v[34:35], v[34:35], v[66:67]
	v_fma_f64 v[140:141], v[136:137], s[20:21], v[152:153]
	v_fma_f64 v[78:79], v[136:137], s[20:21], -v[152:153]
	v_add_f64 v[32:33], v[32:33], v[68:69]
	v_add_f64 v[34:35], v[34:35], v[70:71]
	;; [unrolled: 1-line block ×3, first 2 shown]
	v_add_f64 v[140:141], v[46:47], -v[56:57]
	v_add_f64 v[10:11], v[78:79], v[10:11]
	v_add_f64 v[32:33], v[32:33], v[74:75]
	;; [unrolled: 1-line block ×3, first 2 shown]
	v_fma_f64 v[156:157], v[140:141], s[36:37], v[154:155]
	v_fma_f64 v[78:79], v[140:141], s[16:17], v[154:155]
	v_add_f64 v[18:19], v[156:157], v[18:19]
	v_add_f64 v[156:157], v[50:51], -v[54:55]
	v_add_f64 v[78:79], v[78:79], v[8:9]
	v_mul_f64 v[160:161], v[156:157], s[40:41]
	v_fma_f64 v[162:163], v[158:159], s[34:35], v[160:161]
	v_fma_f64 v[8:9], v[158:159], s[34:35], -v[160:161]
	v_add_f64 v[16:17], v[162:163], v[16:17]
	v_add_f64 v[162:163], v[50:51], v[54:55]
	;; [unrolled: 1-line block ×3, first 2 shown]
	v_mul_f64 v[166:167], v[162:163], s[34:35]
	v_fma_f64 v[132:133], v[164:165], s[40:41], v[166:167]
	v_fma_f64 v[168:169], v[164:165], s[38:39], v[166:167]
	v_mul_f64 v[166:167], v[156:157], s[24:25]
	v_add_f64 v[10:11], v[132:133], v[78:79]
	v_mul_f64 v[78:79], v[104:105], s[6:7]
	v_add_f64 v[18:19], v[168:169], v[18:19]
	v_mul_f64 v[168:169], v[162:163], s[14:15]
	v_fma_f64 v[132:133], v[92:93], s[12:13], v[78:79]
	v_fma_f64 v[78:79], v[92:93], s[12:13], -v[78:79]
	v_add_f64 v[14:15], v[132:133], v[14:15]
	v_mul_f64 v[132:133], v[106:107], s[12:13]
	v_add_f64 v[22:23], v[78:79], v[22:23]
	v_fma_f64 v[134:135], v[96:97], s[30:31], v[132:133]
	v_fma_f64 v[78:79], v[96:97], s[6:7], v[132:133]
	v_fma_f64 v[132:133], v[164:165], s[24:25], v[168:169]
	v_add_f64 v[12:13], v[134:135], v[12:13]
	v_mul_f64 v[134:135], v[120:121], s[40:41]
	v_add_f64 v[20:21], v[78:79], v[20:21]
	v_fma_f64 v[144:145], v[116:117], s[34:35], v[134:135]
	v_fma_f64 v[78:79], v[116:117], s[34:35], -v[134:135]
	v_add_f64 v[14:15], v[144:145], v[14:15]
	v_mul_f64 v[144:145], v[122:123], s[34:35]
	v_add_f64 v[22:23], v[78:79], v[22:23]
	v_fma_f64 v[146:147], v[118:119], s[38:39], v[144:145]
	v_fma_f64 v[78:79], v[118:119], s[40:41], v[144:145]
	v_add_f64 v[12:13], v[146:147], v[12:13]
	v_mul_f64 v[146:147], v[128:129], s[36:37]
	v_add_f64 v[20:21], v[78:79], v[20:21]
	v_fma_f64 v[150:151], v[124:125], s[20:21], v[146:147]
	v_fma_f64 v[78:79], v[124:125], s[20:21], -v[146:147]
	v_add_f64 v[14:15], v[150:151], v[14:15]
	v_mul_f64 v[150:151], v[130:131], s[20:21]
	v_add_f64 v[22:23], v[78:79], v[22:23]
	v_fma_f64 v[152:153], v[126:127], s[16:17], v[150:151]
	v_fma_f64 v[78:79], v[126:127], s[36:37], v[150:151]
	v_add_f64 v[12:13], v[152:153], v[12:13]
	v_mul_f64 v[152:153], v[138:139], s[4:5]
	v_add_f64 v[20:21], v[78:79], v[20:21]
	v_fma_f64 v[154:155], v[136:137], s[0:1], v[152:153]
	v_fma_f64 v[78:79], v[136:137], s[0:1], -v[152:153]
	v_add_f64 v[14:15], v[154:155], v[14:15]
	v_mul_f64 v[154:155], v[142:143], s[0:1]
	v_add_f64 v[22:23], v[78:79], v[22:23]
	v_fma_f64 v[78:79], v[140:141], s[4:5], v[154:155]
	v_fma_f64 v[160:161], v[140:141], s[18:19], v[154:155]
	v_add_f64 v[78:79], v[78:79], v[20:21]
	v_fma_f64 v[20:21], v[158:159], s[14:15], -v[166:167]
	v_add_f64 v[160:161], v[160:161], v[12:13]
	v_fma_f64 v[12:13], v[158:159], s[14:15], v[166:167]
	v_mul_f64 v[166:167], v[156:157], s[16:17]
	v_add_f64 v[20:21], v[20:21], v[22:23]
	v_add_f64 v[22:23], v[132:133], v[78:79]
	v_mul_f64 v[78:79], v[104:105], s[40:41]
	v_add_f64 v[12:13], v[12:13], v[14:15]
	v_fma_f64 v[14:15], v[164:165], s[28:29], v[168:169]
	v_mul_f64 v[168:169], v[162:163], s[20:21]
	v_fma_f64 v[132:133], v[92:93], s[34:35], v[78:79]
	v_fma_f64 v[78:79], v[92:93], s[34:35], -v[78:79]
	v_add_f64 v[14:15], v[14:15], v[160:161]
	v_add_f64 v[26:27], v[132:133], v[26:27]
	v_mul_f64 v[132:133], v[106:107], s[34:35]
	v_add_f64 v[30:31], v[78:79], v[30:31]
	v_fma_f64 v[134:135], v[96:97], s[38:39], v[132:133]
	v_fma_f64 v[78:79], v[96:97], s[40:41], v[132:133]
	v_fma_f64 v[132:133], v[164:165], s[16:17], v[168:169]
	v_add_f64 v[24:25], v[134:135], v[24:25]
	v_mul_f64 v[134:135], v[120:121], s[30:31]
	v_add_f64 v[28:29], v[78:79], v[28:29]
	v_fma_f64 v[144:145], v[116:117], s[12:13], v[134:135]
	v_fma_f64 v[78:79], v[116:117], s[12:13], -v[134:135]
	v_add_f64 v[26:27], v[144:145], v[26:27]
	v_mul_f64 v[144:145], v[122:123], s[12:13]
	v_add_f64 v[30:31], v[78:79], v[30:31]
	v_fma_f64 v[146:147], v[118:119], s[6:7], v[144:145]
	v_fma_f64 v[78:79], v[118:119], s[30:31], v[144:145]
	v_add_f64 v[24:25], v[146:147], v[24:25]
	v_mul_f64 v[146:147], v[128:129], s[24:25]
	v_add_f64 v[28:29], v[78:79], v[28:29]
	v_fma_f64 v[150:151], v[124:125], s[14:15], v[146:147]
	v_fma_f64 v[78:79], v[124:125], s[14:15], -v[146:147]
	v_add_f64 v[26:27], v[150:151], v[26:27]
	v_mul_f64 v[150:151], v[130:131], s[14:15]
	v_add_f64 v[30:31], v[78:79], v[30:31]
	v_fma_f64 v[152:153], v[126:127], s[28:29], v[150:151]
	v_fma_f64 v[78:79], v[126:127], s[24:25], v[150:151]
	v_add_f64 v[24:25], v[152:153], v[24:25]
	v_mul_f64 v[152:153], v[138:139], s[26:27]
	v_add_f64 v[28:29], v[78:79], v[28:29]
	v_fma_f64 v[154:155], v[136:137], s[10:11], v[152:153]
	v_fma_f64 v[78:79], v[136:137], s[10:11], -v[152:153]
	v_add_f64 v[26:27], v[154:155], v[26:27]
	v_mul_f64 v[154:155], v[142:143], s[10:11]
	v_add_f64 v[30:31], v[78:79], v[30:31]
	v_fma_f64 v[78:79], v[140:141], s[26:27], v[154:155]
	v_fma_f64 v[160:161], v[140:141], s[22:23], v[154:155]
	v_add_f64 v[78:79], v[78:79], v[28:29]
	v_fma_f64 v[28:29], v[158:159], s[20:21], -v[166:167]
	v_add_f64 v[160:161], v[160:161], v[24:25]
	v_fma_f64 v[24:25], v[158:159], s[20:21], v[166:167]
	v_mul_f64 v[166:167], v[156:157], s[22:23]
	v_add_f64 v[28:29], v[28:29], v[30:31]
	v_add_f64 v[30:31], v[132:133], v[78:79]
	v_mul_f64 v[78:79], v[104:105], s[36:37]
	v_add_f64 v[24:25], v[24:25], v[26:27]
	v_fma_f64 v[26:27], v[164:165], s[36:37], v[168:169]
	v_mul_f64 v[168:169], v[162:163], s[10:11]
	v_fma_f64 v[132:133], v[92:93], s[20:21], v[78:79]
	v_fma_f64 v[78:79], v[92:93], s[20:21], -v[78:79]
	v_add_f64 v[26:27], v[26:27], v[160:161]
	;; [unrolled: 50-line block ×3, first 2 shown]
	v_add_f64 v[102:103], v[132:133], v[102:103]
	v_mul_f64 v[132:133], v[106:107], s[0:1]
	v_add_f64 v[78:79], v[78:79], v[98:99]
	v_fma_f64 v[134:135], v[96:97], s[18:19], v[132:133]
	v_fma_f64 v[98:99], v[96:97], s[4:5], v[132:133]
	v_add_f64 v[100:101], v[134:135], v[100:101]
	v_mul_f64 v[134:135], v[120:121], s[26:27]
	v_add_f64 v[94:95], v[98:99], v[94:95]
	v_fma_f64 v[144:145], v[116:117], s[10:11], v[134:135]
	v_fma_f64 v[98:99], v[116:117], s[10:11], -v[134:135]
	v_fma_f64 v[134:135], v[164:165], s[6:7], v[168:169]
	v_add_f64 v[102:103], v[144:145], v[102:103]
	v_mul_f64 v[144:145], v[122:123], s[10:11]
	v_add_f64 v[78:79], v[98:99], v[78:79]
	v_fma_f64 v[146:147], v[118:119], s[22:23], v[144:145]
	v_fma_f64 v[98:99], v[118:119], s[26:27], v[144:145]
	v_add_f64 v[100:101], v[146:147], v[100:101]
	v_mul_f64 v[146:147], v[128:129], s[38:39]
	v_add_f64 v[94:95], v[98:99], v[94:95]
	v_fma_f64 v[150:151], v[124:125], s[34:35], v[146:147]
	v_fma_f64 v[98:99], v[124:125], s[34:35], -v[146:147]
	v_add_f64 v[102:103], v[150:151], v[102:103]
	v_mul_f64 v[150:151], v[130:131], s[34:35]
	v_add_f64 v[78:79], v[98:99], v[78:79]
	v_fma_f64 v[152:153], v[126:127], s[40:41], v[150:151]
	v_fma_f64 v[98:99], v[126:127], s[38:39], v[150:151]
	v_add_f64 v[100:101], v[152:153], v[100:101]
	v_mul_f64 v[152:153], v[138:139], s[24:25]
	v_add_f64 v[94:95], v[98:99], v[94:95]
	v_fma_f64 v[154:155], v[136:137], s[14:15], v[152:153]
	v_fma_f64 v[98:99], v[136:137], s[14:15], -v[152:153]
	v_add_f64 v[102:103], v[154:155], v[102:103]
	v_mul_f64 v[154:155], v[142:143], s[14:15]
	v_add_f64 v[78:79], v[98:99], v[78:79]
	v_fma_f64 v[98:99], v[140:141], s[24:25], v[154:155]
	v_fma_f64 v[160:161], v[140:141], s[28:29], v[154:155]
	v_add_f64 v[94:95], v[98:99], v[94:95]
	v_fma_f64 v[98:99], v[158:159], s[12:13], -v[166:167]
	v_add_f64 v[160:161], v[160:161], v[100:101]
	v_fma_f64 v[100:101], v[158:159], s[12:13], v[166:167]
	v_add_f64 v[134:135], v[134:135], v[94:95]
	v_add_f64 v[132:133], v[98:99], v[78:79]
	v_mul_f64 v[78:79], v[104:105], s[24:25]
	v_add_f64 v[100:101], v[100:101], v[102:103]
	v_fma_f64 v[102:103], v[164:165], s[30:31], v[168:169]
	v_fma_f64 v[94:95], v[92:93], s[14:15], v[78:79]
	v_fma_f64 v[78:79], v[92:93], s[14:15], -v[78:79]
	v_add_f64 v[102:103], v[102:103], v[160:161]
	v_add_f64 v[90:91], v[94:95], v[90:91]
	v_mul_f64 v[94:95], v[106:107], s[14:15]
	v_add_f64 v[78:79], v[78:79], v[84:85]
	v_fma_f64 v[98:99], v[96:97], s[28:29], v[94:95]
	v_fma_f64 v[92:93], v[96:97], s[24:25], v[94:95]
	v_add_f64 v[88:89], v[98:99], v[88:89]
	v_mul_f64 v[98:99], v[120:121], s[16:17]
	v_add_f64 v[84:85], v[92:93], v[86:87]
	v_fma_f64 v[104:105], v[116:117], s[20:21], v[98:99]
	v_fma_f64 v[94:95], v[116:117], s[20:21], -v[98:99]
	v_add_f64 v[90:91], v[104:105], v[90:91]
	v_mul_f64 v[104:105], v[122:123], s[20:21]
	v_add_f64 v[78:79], v[94:95], v[78:79]
	v_fma_f64 v[106:107], v[118:119], s[36:37], v[104:105]
	v_fma_f64 v[96:97], v[118:119], s[16:17], v[104:105]
	v_add_f64 v[88:89], v[106:107], v[88:89]
	v_mul_f64 v[106:107], v[128:129], s[22:23]
	v_add_f64 v[84:85], v[96:97], v[84:85]
	v_fma_f64 v[120:121], v[124:125], s[10:11], v[106:107]
	v_fma_f64 v[86:87], v[124:125], s[10:11], -v[106:107]
	v_add_f64 v[90:91], v[120:121], v[90:91]
	v_mul_f64 v[120:121], v[130:131], s[10:11]
	v_add_f64 v[78:79], v[86:87], v[78:79]
	v_fma_f64 v[122:123], v[126:127], s[26:27], v[120:121]
	v_fma_f64 v[92:93], v[126:127], s[22:23], v[120:121]
	v_add_f64 v[88:89], v[122:123], v[88:89]
	v_mul_f64 v[122:123], v[138:139], s[6:7]
	v_mul_f64 v[138:139], v[156:157], s[4:5]
	v_add_f64 v[84:85], v[92:93], v[84:85]
	v_fma_f64 v[128:129], v[136:137], s[12:13], v[122:123]
	v_fma_f64 v[94:95], v[136:137], s[12:13], -v[122:123]
	v_fma_f64 v[86:87], v[158:159], s[0:1], -v[138:139]
	v_add_f64 v[90:91], v[128:129], v[90:91]
	v_mul_f64 v[128:129], v[142:143], s[12:13]
	v_mul_f64 v[142:143], v[162:163], s[0:1]
	v_add_f64 v[78:79], v[94:95], v[78:79]
	v_fma_f64 v[130:131], v[140:141], s[30:31], v[128:129]
	v_fma_f64 v[96:97], v[140:141], s[6:7], v[128:129]
	;; [unrolled: 1-line block ×3, first 2 shown]
	v_add_f64 v[130:131], v[130:131], v[88:89]
	v_fma_f64 v[88:89], v[158:159], s[0:1], v[138:139]
	v_add_f64 v[94:95], v[96:97], v[84:85]
	v_add_f64 v[84:85], v[86:87], v[78:79]
	v_cmp_gt_u32_e64 s0, 17, v76
	v_add_f64 v[88:89], v[88:89], v[90:91]
	v_fma_f64 v[90:91], v[164:165], s[18:19], v[142:143]
	v_add_f64 v[86:87], v[92:93], v[94:95]
	v_add_f64 v[90:91], v[90:91], v[130:131]
	ds_write_b128 v36, v[16:19] offset:272
	ds_write_b128 v36, v[12:15] offset:544
	;; [unrolled: 1-line block ×12, first 2 shown]
	ds_write_b128 v36, v[32:35]
	s_waitcnt lgkmcnt(0)
	s_barrier
	buffer_gl0_inv
	ds_read_b128 v[16:19], v77
	ds_read_b128 v[12:15], v77 offset:816
	ds_read_b128 v[36:39], v77 offset:3536
	;; [unrolled: 1-line block ×11, first 2 shown]
	s_and_saveexec_b32 s1, s0
	s_cbranch_execz .LBB0_15
; %bb.14:
	ds_read_b128 v[8:11], v77 offset:3264
	ds_read_b128 v[0:3], v77 offset:6800
	;; [unrolled: 1-line block ×3, first 2 shown]
.LBB0_15:
	s_or_b32 exec_lo, exec_lo, s1
	s_and_saveexec_b32 s1, vcc_lo
	s_cbranch_execz .LBB0_18
; %bb.16:
	v_add_nc_u32_e32 v68, 0x99, v76
	v_mov_b32_e32 v61, 0
	v_add_nc_u32_e32 v75, 0x66, v76
	v_lshlrev_b32_e32 v64, 1, v76
	s_mov_b32 s4, 0xe8584caa
	v_lshlrev_b32_e32 v60, 1, v68
	v_mov_b32_e32 v65, v61
	s_mov_b32 s5, 0xbfebb67a
	s_mov_b32 s7, 0x3febb67a
	;; [unrolled: 1-line block ×3, first 2 shown]
	v_lshlrev_b64 v[62:63], 4, v[60:61]
	v_lshlrev_b32_e32 v60, 1, v75
	v_add_co_u32 v69, vcc_lo, s8, v62
	v_add_co_ci_u32_e32 v70, vcc_lo, s9, v63, vcc_lo
	v_lshlrev_b64 v[62:63], 4, v[60:61]
	v_add_co_u32 v66, vcc_lo, 0xcc0, v69
	v_add_co_ci_u32_e32 v67, vcc_lo, 0, v70, vcc_lo
	v_add_co_u32 v69, vcc_lo, 0x800, v69
	v_add_co_ci_u32_e32 v70, vcc_lo, 0, v70, vcc_lo
	;; [unrolled: 2-line block ×3, first 2 shown]
	v_add_nc_u32_e32 v60, 0x66, v64
	v_add_co_u32 v62, vcc_lo, 0xcc0, v73
	v_add_co_ci_u32_e32 v63, vcc_lo, 0, v74, vcc_lo
	v_lshlrev_b64 v[64:65], 4, v[64:65]
	s_clause 0x1
	global_load_dwordx4 v[69:72], v[69:70], off offset:1216
	global_load_dwordx4 v[80:83], v[66:67], off offset:16
	v_add_co_u32 v66, vcc_lo, 0x800, v73
	v_add_co_ci_u32_e32 v67, vcc_lo, 0, v74, vcc_lo
	v_lshlrev_b64 v[73:74], 4, v[60:61]
	v_add_co_u32 v60, vcc_lo, s8, v64
	v_add_co_ci_u32_e32 v77, vcc_lo, s9, v65, vcc_lo
	v_add_co_u32 v79, vcc_lo, s8, v73
	v_add_co_ci_u32_e32 v92, vcc_lo, s9, v74, vcc_lo
	;; [unrolled: 2-line block ×5, first 2 shown]
	s_clause 0x1
	global_load_dwordx4 v[84:87], v[73:74], off offset:1216
	global_load_dwordx4 v[88:91], v[64:65], off offset:16
	v_add_co_u32 v64, vcc_lo, 0x800, v79
	v_add_co_ci_u32_e32 v65, vcc_lo, 0, v92, vcc_lo
	s_clause 0x3
	global_load_dwordx4 v[92:95], v[66:67], off offset:1216
	global_load_dwordx4 v[96:99], v[62:63], off offset:16
	;; [unrolled: 1-line block ×4, first 2 shown]
	v_mov_b32_e32 v77, v61
	v_mul_hi_u32 v60, 0x288b0129, v75
	v_mul_hi_u32 v66, 0x288b0129, v68
	v_lshlrev_b64 v[62:63], 4, v[76:77]
	v_sub_nc_u32_e32 v64, v75, v60
	v_sub_nc_u32_e32 v65, v68, v66
	v_add_co_u32 v75, vcc_lo, s2, v224
	v_add_co_ci_u32_e32 v122, vcc_lo, s3, v225, vcc_lo
	v_lshrrev_b32_e32 v64, 1, v64
	v_lshrrev_b32_e32 v67, 1, v65
	v_add_co_u32 v62, vcc_lo, v75, v62
	v_add_co_ci_u32_e32 v63, vcc_lo, v122, v63, vcc_lo
	v_add_nc_u32_e32 v60, v64, v60
	v_add_nc_u32_e32 v79, v67, v66
	v_add_co_u32 v64, vcc_lo, 0x800, v62
	v_add_co_ci_u32_e32 v65, vcc_lo, 0, v63, vcc_lo
	v_lshrrev_b32_e32 v60, 7, v60
	v_lshrrev_b32_e32 v79, 7, v79
	v_add_co_u32 v66, vcc_lo, 0x1800, v62
	v_add_co_ci_u32_e32 v67, vcc_lo, 0, v63, vcc_lo
	v_mul_u32_u24_e32 v60, 0x1ba, v60
	v_lshlrev_b64 v[120:121], 4, v[60:61]
	v_mad_u32_u24 v60, 0x1ba, v79, v68
	s_waitcnt vmcnt(7) lgkmcnt(2)
	v_mul_f64 v[73:74], v[52:53], v[71:72]
	s_waitcnt vmcnt(6) lgkmcnt(0)
	v_mul_f64 v[77:78], v[56:57], v[82:83]
	v_mul_f64 v[71:72], v[54:55], v[71:72]
	;; [unrolled: 1-line block ×3, first 2 shown]
	v_fma_f64 v[54:55], v[54:55], v[69:70], -v[73:74]
	v_fma_f64 v[58:59], v[58:59], v[80:81], -v[77:78]
	v_fma_f64 v[52:53], v[52:53], v[69:70], v[71:72]
	v_fma_f64 v[56:57], v[56:57], v[80:81], v[82:83]
	v_add_co_u32 v69, vcc_lo, 0x1000, v62
	s_waitcnt vmcnt(5)
	v_mul_f64 v[108:109], v[36:37], v[86:87]
	s_waitcnt vmcnt(4)
	v_mul_f64 v[110:111], v[40:41], v[90:91]
	v_mul_f64 v[86:87], v[38:39], v[86:87]
	v_mul_f64 v[90:91], v[42:43], v[90:91]
	s_waitcnt vmcnt(3)
	v_mul_f64 v[112:113], v[44:45], v[94:95]
	s_waitcnt vmcnt(2)
	v_mul_f64 v[114:115], v[48:49], v[98:99]
	v_mul_f64 v[94:95], v[46:47], v[94:95]
	v_mul_f64 v[98:99], v[50:51], v[98:99]
	;; [unrolled: 6-line block ×3, first 2 shown]
	v_add_co_ci_u32_e32 v70, vcc_lo, 0, v63, vcc_lo
	v_add_co_u32 v71, vcc_lo, v62, v120
	v_add_co_ci_u32_e32 v72, vcc_lo, v63, v121, vcc_lo
	v_add_f64 v[79:80], v[54:55], v[58:59]
	v_add_f64 v[81:82], v[52:53], -v[56:57]
	v_lshlrev_b64 v[73:74], 4, v[60:61]
	v_add_co_u32 v77, vcc_lo, 0x1000, v71
	v_fma_f64 v[38:39], v[38:39], v[84:85], -v[108:109]
	v_fma_f64 v[42:43], v[42:43], v[88:89], -v[110:111]
	v_fma_f64 v[36:37], v[36:37], v[84:85], v[86:87]
	v_fma_f64 v[40:41], v[40:41], v[88:89], v[90:91]
	v_fma_f64 v[46:47], v[46:47], v[92:93], -v[112:113]
	v_fma_f64 v[50:51], v[50:51], v[96:97], -v[114:115]
	v_fma_f64 v[44:45], v[44:45], v[92:93], v[94:95]
	v_fma_f64 v[48:49], v[48:49], v[96:97], v[98:99]
	;; [unrolled: 4-line block ×3, first 2 shown]
	v_add_f64 v[83:84], v[52:53], v[56:57]
	v_add_f64 v[87:88], v[26:27], v[54:55]
	v_add_f64 v[99:100], v[54:55], -v[58:59]
	v_add_f64 v[52:53], v[24:25], v[52:53]
	v_add_co_ci_u32_e32 v78, vcc_lo, 0, v72, vcc_lo
	v_fma_f64 v[79:80], v[79:80], -0.5, v[26:27]
	v_add_co_u32 v73, vcc_lo, v75, v73
	v_add_co_ci_u32_e32 v74, vcc_lo, v122, v74, vcc_lo
	v_add_f64 v[85:86], v[38:39], v[42:43]
	v_add_f64 v[101:102], v[18:19], v[38:39]
	v_add_f64 v[89:90], v[36:37], v[40:41]
	v_add_f64 v[54:55], v[36:37], -v[40:41]
	v_add_f64 v[91:92], v[46:47], v[50:51]
	v_add_f64 v[36:37], v[16:17], v[36:37]
	v_add_f64 v[93:94], v[44:45], v[48:49]
	v_add_f64 v[103:104], v[38:39], -v[42:43]
	;; [unrolled: 4-line block ×3, first 2 shown]
	v_add_f64 v[46:47], v[14:15], v[30:31]
	v_add_f64 v[109:110], v[12:13], v[28:29]
	v_add_f64 v[105:106], v[44:45], -v[48:49]
	v_add_f64 v[44:45], v[20:21], v[44:45]
	v_add_f64 v[111:112], v[28:29], -v[32:33]
	v_add_f64 v[113:114], v[30:31], -v[34:35]
	v_fma_f64 v[83:84], v[83:84], -0.5, v[24:25]
	v_fma_f64 v[30:31], v[81:82], s[4:5], v[79:80]
	v_fma_f64 v[85:86], v[85:86], -0.5, v[18:19]
	v_add_f64 v[18:19], v[101:102], v[42:43]
	v_fma_f64 v[89:90], v[89:90], -0.5, v[16:17]
	v_fma_f64 v[91:92], v[91:92], -0.5, v[22:23]
	v_add_f64 v[16:17], v[36:37], v[40:41]
	v_fma_f64 v[93:94], v[93:94], -0.5, v[20:21]
	;; [unrolled: 3-line block ×3, first 2 shown]
	v_add_f64 v[12:13], v[52:53], v[56:57]
	v_add_f64 v[26:27], v[46:47], v[34:35]
	;; [unrolled: 1-line block ×5, first 2 shown]
	v_fma_f64 v[34:35], v[81:82], s[6:7], v[79:80]
	v_add_co_u32 v79, vcc_lo, 0x2000, v71
	v_fma_f64 v[32:33], v[99:100], s[4:5], v[83:84]
	v_fma_f64 v[28:29], v[99:100], s[6:7], v[83:84]
	v_add_co_ci_u32_e32 v80, vcc_lo, 0, v72, vcc_lo
	v_fma_f64 v[42:43], v[54:55], s[6:7], v[85:86]
	v_fma_f64 v[40:41], v[103:104], s[4:5], v[89:90]
	;; [unrolled: 1-line block ×12, first 2 shown]
	v_add_co_u32 v81, vcc_lo, 0x800, v73
	v_add_co_ci_u32_e32 v82, vcc_lo, 0, v74, vcc_lo
	v_add_co_u32 v83, vcc_lo, 0x1800, v73
	v_add_co_ci_u32_e32 v84, vcc_lo, 0, v74, vcc_lo
	global_store_dwordx4 v[62:63], v[16:19], off
	global_store_dwordx4 v[62:63], v[24:27], off offset:816
	global_store_dwordx4 v[64:65], v[40:43], off offset:1488
	;; [unrolled: 1-line block ×8, first 2 shown]
	global_store_dwordx4 v[73:74], v[12:15], off
	global_store_dwordx4 v[81:82], v[32:35], off offset:1488
	global_store_dwordx4 v[83:84], v[28:31], off offset:928
	s_and_b32 exec_lo, exec_lo, s0
	s_cbranch_execz .LBB0_18
; %bb.17:
	v_mov_b32_e32 v12, 0xcc
	v_cndmask_b32_e64 v12, 0xffffffef, v12, s0
	v_add_lshl_u32 v60, v76, v12, 1
	v_lshlrev_b64 v[12:13], 4, v[60:61]
	v_add_co_u32 v14, vcc_lo, s8, v12
	v_add_co_ci_u32_e32 v15, vcc_lo, s9, v13, vcc_lo
	v_add_co_u32 v12, vcc_lo, 0x800, v14
	v_add_co_ci_u32_e32 v13, vcc_lo, 0, v15, vcc_lo
	;; [unrolled: 2-line block ×3, first 2 shown]
	s_clause 0x1
	global_load_dwordx4 v[12:15], v[12:13], off offset:1216
	global_load_dwordx4 v[16:19], v[16:17], off offset:16
	s_waitcnt vmcnt(1)
	v_mul_f64 v[20:21], v[2:3], v[14:15]
	s_waitcnt vmcnt(0)
	v_mul_f64 v[22:23], v[6:7], v[18:19]
	v_mul_f64 v[14:15], v[0:1], v[14:15]
	v_mul_f64 v[18:19], v[4:5], v[18:19]
	v_fma_f64 v[0:1], v[0:1], v[12:13], v[20:21]
	v_fma_f64 v[4:5], v[4:5], v[16:17], v[22:23]
	v_fma_f64 v[2:3], v[2:3], v[12:13], -v[14:15]
	v_fma_f64 v[6:7], v[6:7], v[16:17], -v[18:19]
	v_add_f64 v[16:17], v[8:9], v[0:1]
	v_add_f64 v[12:13], v[0:1], v[4:5]
	;; [unrolled: 1-line block ×3, first 2 shown]
	v_add_f64 v[18:19], v[2:3], -v[6:7]
	v_add_f64 v[2:3], v[10:11], v[2:3]
	v_fma_f64 v[8:9], v[12:13], -0.5, v[8:9]
	v_add_f64 v[12:13], v[0:1], -v[4:5]
	v_fma_f64 v[10:11], v[14:15], -0.5, v[10:11]
	v_add_f64 v[0:1], v[16:17], v[4:5]
	v_add_f64 v[2:3], v[2:3], v[6:7]
	v_fma_f64 v[4:5], v[18:19], s[4:5], v[8:9]
	v_fma_f64 v[8:9], v[18:19], s[6:7], v[8:9]
	;; [unrolled: 1-line block ×4, first 2 shown]
	v_add_co_u32 v12, vcc_lo, 0x2800, v62
	v_add_co_ci_u32_e32 v13, vcc_lo, 0, v63, vcc_lo
	global_store_dwordx4 v[64:65], v[0:3], off offset:1216
	global_store_dwordx4 v[66:67], v[4:7], off offset:656
	;; [unrolled: 1-line block ×3, first 2 shown]
.LBB0_18:
	s_endpgm
	.section	.rodata,"a",@progbits
	.p2align	6, 0x0
	.amdhsa_kernel fft_rtc_back_len663_factors_17_13_3_wgs_51_tpt_51_dp_ip_CI_unitstride_sbrr_dirReg
		.amdhsa_group_segment_fixed_size 0
		.amdhsa_private_segment_fixed_size 20
		.amdhsa_kernarg_size 88
		.amdhsa_user_sgpr_count 6
		.amdhsa_user_sgpr_private_segment_buffer 1
		.amdhsa_user_sgpr_dispatch_ptr 0
		.amdhsa_user_sgpr_queue_ptr 0
		.amdhsa_user_sgpr_kernarg_segment_ptr 1
		.amdhsa_user_sgpr_dispatch_id 0
		.amdhsa_user_sgpr_flat_scratch_init 0
		.amdhsa_user_sgpr_private_segment_size 0
		.amdhsa_wavefront_size32 1
		.amdhsa_uses_dynamic_stack 0
		.amdhsa_system_sgpr_private_segment_wavefront_offset 1
		.amdhsa_system_sgpr_workgroup_id_x 1
		.amdhsa_system_sgpr_workgroup_id_y 0
		.amdhsa_system_sgpr_workgroup_id_z 0
		.amdhsa_system_sgpr_workgroup_info 0
		.amdhsa_system_vgpr_workitem_id 0
		.amdhsa_next_free_vgpr 256
		.amdhsa_next_free_sgpr 60
		.amdhsa_reserve_vcc 1
		.amdhsa_reserve_flat_scratch 0
		.amdhsa_float_round_mode_32 0
		.amdhsa_float_round_mode_16_64 0
		.amdhsa_float_denorm_mode_32 3
		.amdhsa_float_denorm_mode_16_64 3
		.amdhsa_dx10_clamp 1
		.amdhsa_ieee_mode 1
		.amdhsa_fp16_overflow 0
		.amdhsa_workgroup_processor_mode 1
		.amdhsa_memory_ordered 1
		.amdhsa_forward_progress 0
		.amdhsa_shared_vgpr_count 0
		.amdhsa_exception_fp_ieee_invalid_op 0
		.amdhsa_exception_fp_denorm_src 0
		.amdhsa_exception_fp_ieee_div_zero 0
		.amdhsa_exception_fp_ieee_overflow 0
		.amdhsa_exception_fp_ieee_underflow 0
		.amdhsa_exception_fp_ieee_inexact 0
		.amdhsa_exception_int_div_zero 0
	.end_amdhsa_kernel
	.text
.Lfunc_end0:
	.size	fft_rtc_back_len663_factors_17_13_3_wgs_51_tpt_51_dp_ip_CI_unitstride_sbrr_dirReg, .Lfunc_end0-fft_rtc_back_len663_factors_17_13_3_wgs_51_tpt_51_dp_ip_CI_unitstride_sbrr_dirReg
                                        ; -- End function
	.section	.AMDGPU.csdata,"",@progbits
; Kernel info:
; codeLenInByte = 14288
; NumSgprs: 62
; NumVgprs: 256
; ScratchSize: 20
; MemoryBound: 1
; FloatMode: 240
; IeeeMode: 1
; LDSByteSize: 0 bytes/workgroup (compile time only)
; SGPRBlocks: 7
; VGPRBlocks: 31
; NumSGPRsForWavesPerEU: 62
; NumVGPRsForWavesPerEU: 256
; Occupancy: 4
; WaveLimiterHint : 1
; COMPUTE_PGM_RSRC2:SCRATCH_EN: 1
; COMPUTE_PGM_RSRC2:USER_SGPR: 6
; COMPUTE_PGM_RSRC2:TRAP_HANDLER: 0
; COMPUTE_PGM_RSRC2:TGID_X_EN: 1
; COMPUTE_PGM_RSRC2:TGID_Y_EN: 0
; COMPUTE_PGM_RSRC2:TGID_Z_EN: 0
; COMPUTE_PGM_RSRC2:TIDIG_COMP_CNT: 0
	.text
	.p2alignl 6, 3214868480
	.fill 48, 4, 3214868480
	.type	__hip_cuid_8e44a3a4829cca10,@object ; @__hip_cuid_8e44a3a4829cca10
	.section	.bss,"aw",@nobits
	.globl	__hip_cuid_8e44a3a4829cca10
__hip_cuid_8e44a3a4829cca10:
	.byte	0                               ; 0x0
	.size	__hip_cuid_8e44a3a4829cca10, 1

	.ident	"AMD clang version 19.0.0git (https://github.com/RadeonOpenCompute/llvm-project roc-6.4.0 25133 c7fe45cf4b819c5991fe208aaa96edf142730f1d)"
	.section	".note.GNU-stack","",@progbits
	.addrsig
	.addrsig_sym __hip_cuid_8e44a3a4829cca10
	.amdgpu_metadata
---
amdhsa.kernels:
  - .args:
      - .actual_access:  read_only
        .address_space:  global
        .offset:         0
        .size:           8
        .value_kind:     global_buffer
      - .offset:         8
        .size:           8
        .value_kind:     by_value
      - .actual_access:  read_only
        .address_space:  global
        .offset:         16
        .size:           8
        .value_kind:     global_buffer
      - .actual_access:  read_only
        .address_space:  global
        .offset:         24
        .size:           8
        .value_kind:     global_buffer
      - .offset:         32
        .size:           8
        .value_kind:     by_value
      - .actual_access:  read_only
        .address_space:  global
        .offset:         40
        .size:           8
        .value_kind:     global_buffer
      - .actual_access:  read_only
        .address_space:  global
        .offset:         48
        .size:           8
        .value_kind:     global_buffer
      - .offset:         56
        .size:           4
        .value_kind:     by_value
      - .actual_access:  read_only
        .address_space:  global
        .offset:         64
        .size:           8
        .value_kind:     global_buffer
      - .actual_access:  read_only
        .address_space:  global
        .offset:         72
        .size:           8
        .value_kind:     global_buffer
      - .address_space:  global
        .offset:         80
        .size:           8
        .value_kind:     global_buffer
    .group_segment_fixed_size: 0
    .kernarg_segment_align: 8
    .kernarg_segment_size: 88
    .language:       OpenCL C
    .language_version:
      - 2
      - 0
    .max_flat_workgroup_size: 51
    .name:           fft_rtc_back_len663_factors_17_13_3_wgs_51_tpt_51_dp_ip_CI_unitstride_sbrr_dirReg
    .private_segment_fixed_size: 20
    .sgpr_count:     62
    .sgpr_spill_count: 0
    .symbol:         fft_rtc_back_len663_factors_17_13_3_wgs_51_tpt_51_dp_ip_CI_unitstride_sbrr_dirReg.kd
    .uniform_work_group_size: 1
    .uses_dynamic_stack: false
    .vgpr_count:     256
    .vgpr_spill_count: 4
    .wavefront_size: 32
    .workgroup_processor_mode: 1
amdhsa.target:   amdgcn-amd-amdhsa--gfx1030
amdhsa.version:
  - 1
  - 2
...

	.end_amdgpu_metadata
